;; amdgpu-corpus repo=ROCm/rocFFT kind=compiled arch=gfx1201 opt=O3
	.text
	.amdgcn_target "amdgcn-amd-amdhsa--gfx1201"
	.amdhsa_code_object_version 6
	.protected	fft_rtc_back_len480_factors_10_8_6_wgs_64_tpt_16_halfLds_dp_ip_CI_unitstride_sbrr_dirReg ; -- Begin function fft_rtc_back_len480_factors_10_8_6_wgs_64_tpt_16_halfLds_dp_ip_CI_unitstride_sbrr_dirReg
	.globl	fft_rtc_back_len480_factors_10_8_6_wgs_64_tpt_16_halfLds_dp_ip_CI_unitstride_sbrr_dirReg
	.p2align	8
	.type	fft_rtc_back_len480_factors_10_8_6_wgs_64_tpt_16_halfLds_dp_ip_CI_unitstride_sbrr_dirReg,@function
fft_rtc_back_len480_factors_10_8_6_wgs_64_tpt_16_halfLds_dp_ip_CI_unitstride_sbrr_dirReg: ; @fft_rtc_back_len480_factors_10_8_6_wgs_64_tpt_16_halfLds_dp_ip_CI_unitstride_sbrr_dirReg
; %bb.0:
	s_clause 0x2
	s_load_b128 s[4:7], s[0:1], 0x0
	s_load_b64 s[8:9], s[0:1], 0x50
	s_load_b64 s[10:11], s[0:1], 0x18
	v_lshrrev_b32_e32 v38, 4, v0
	v_mov_b32_e32 v3, 0
	v_mov_b32_e32 v1, 0
	;; [unrolled: 1-line block ×3, first 2 shown]
	s_delay_alu instid0(VALU_DEP_4) | instskip(NEXT) | instid1(VALU_DEP_4)
	v_lshl_or_b32 v5, ttmp9, 2, v38
	v_mov_b32_e32 v6, v3
	s_wait_kmcnt 0x0
	v_cmp_lt_u64_e64 s2, s[6:7], 2
	s_delay_alu instid0(VALU_DEP_1)
	s_and_b32 vcc_lo, exec_lo, s2
	s_cbranch_vccnz .LBB0_8
; %bb.1:
	s_load_b64 s[2:3], s[0:1], 0x10
	v_mov_b32_e32 v1, 0
	v_mov_b32_e32 v2, 0
	s_add_nc_u64 s[12:13], s[10:11], 8
	s_mov_b64 s[14:15], 1
	s_wait_kmcnt 0x0
	s_add_nc_u64 s[16:17], s[2:3], 8
	s_mov_b32 s3, 0
.LBB0_2:                                ; =>This Inner Loop Header: Depth=1
	s_load_b64 s[18:19], s[16:17], 0x0
                                        ; implicit-def: $vgpr7_vgpr8
	s_mov_b32 s2, exec_lo
	s_wait_kmcnt 0x0
	v_or_b32_e32 v4, s19, v6
	s_delay_alu instid0(VALU_DEP_1)
	v_cmpx_ne_u64_e32 0, v[3:4]
	s_wait_alu 0xfffe
	s_xor_b32 s20, exec_lo, s2
	s_cbranch_execz .LBB0_4
; %bb.3:                                ;   in Loop: Header=BB0_2 Depth=1
	s_cvt_f32_u32 s2, s18
	s_cvt_f32_u32 s21, s19
	s_sub_nc_u64 s[24:25], 0, s[18:19]
	s_wait_alu 0xfffe
	s_delay_alu instid0(SALU_CYCLE_1) | instskip(SKIP_1) | instid1(SALU_CYCLE_2)
	s_fmamk_f32 s2, s21, 0x4f800000, s2
	s_wait_alu 0xfffe
	v_s_rcp_f32 s2, s2
	s_delay_alu instid0(TRANS32_DEP_1) | instskip(SKIP_1) | instid1(SALU_CYCLE_2)
	s_mul_f32 s2, s2, 0x5f7ffffc
	s_wait_alu 0xfffe
	s_mul_f32 s21, s2, 0x2f800000
	s_wait_alu 0xfffe
	s_delay_alu instid0(SALU_CYCLE_2) | instskip(SKIP_1) | instid1(SALU_CYCLE_2)
	s_trunc_f32 s21, s21
	s_wait_alu 0xfffe
	s_fmamk_f32 s2, s21, 0xcf800000, s2
	s_cvt_u32_f32 s23, s21
	s_wait_alu 0xfffe
	s_delay_alu instid0(SALU_CYCLE_1) | instskip(SKIP_1) | instid1(SALU_CYCLE_2)
	s_cvt_u32_f32 s22, s2
	s_wait_alu 0xfffe
	s_mul_u64 s[26:27], s[24:25], s[22:23]
	s_wait_alu 0xfffe
	s_mul_hi_u32 s29, s22, s27
	s_mul_i32 s28, s22, s27
	s_mul_hi_u32 s2, s22, s26
	s_mul_i32 s30, s23, s26
	s_wait_alu 0xfffe
	s_add_nc_u64 s[28:29], s[2:3], s[28:29]
	s_mul_hi_u32 s21, s23, s26
	s_mul_hi_u32 s31, s23, s27
	s_add_co_u32 s2, s28, s30
	s_wait_alu 0xfffe
	s_add_co_ci_u32 s2, s29, s21
	s_mul_i32 s26, s23, s27
	s_add_co_ci_u32 s27, s31, 0
	s_wait_alu 0xfffe
	s_add_nc_u64 s[26:27], s[2:3], s[26:27]
	s_wait_alu 0xfffe
	v_add_co_u32 v4, s2, s22, s26
	s_delay_alu instid0(VALU_DEP_1) | instskip(SKIP_1) | instid1(VALU_DEP_1)
	s_cmp_lg_u32 s2, 0
	s_add_co_ci_u32 s23, s23, s27
	v_readfirstlane_b32 s22, v4
	s_wait_alu 0xfffe
	s_delay_alu instid0(VALU_DEP_1)
	s_mul_u64 s[24:25], s[24:25], s[22:23]
	s_wait_alu 0xfffe
	s_mul_hi_u32 s27, s22, s25
	s_mul_i32 s26, s22, s25
	s_mul_hi_u32 s2, s22, s24
	s_mul_i32 s28, s23, s24
	s_wait_alu 0xfffe
	s_add_nc_u64 s[26:27], s[2:3], s[26:27]
	s_mul_hi_u32 s21, s23, s24
	s_mul_hi_u32 s22, s23, s25
	s_wait_alu 0xfffe
	s_add_co_u32 s2, s26, s28
	s_add_co_ci_u32 s2, s27, s21
	s_mul_i32 s24, s23, s25
	s_add_co_ci_u32 s25, s22, 0
	s_wait_alu 0xfffe
	s_add_nc_u64 s[24:25], s[2:3], s[24:25]
	s_wait_alu 0xfffe
	v_add_co_u32 v4, s2, v4, s24
	s_delay_alu instid0(VALU_DEP_1) | instskip(SKIP_1) | instid1(VALU_DEP_1)
	s_cmp_lg_u32 s2, 0
	s_add_co_ci_u32 s2, s23, s25
	v_mul_hi_u32 v13, v5, v4
	s_wait_alu 0xfffe
	v_mad_co_u64_u32 v[7:8], null, v5, s2, 0
	v_mad_co_u64_u32 v[9:10], null, v6, v4, 0
	;; [unrolled: 1-line block ×3, first 2 shown]
	s_delay_alu instid0(VALU_DEP_3) | instskip(SKIP_1) | instid1(VALU_DEP_4)
	v_add_co_u32 v4, vcc_lo, v13, v7
	s_wait_alu 0xfffd
	v_add_co_ci_u32_e32 v7, vcc_lo, 0, v8, vcc_lo
	s_delay_alu instid0(VALU_DEP_2) | instskip(SKIP_1) | instid1(VALU_DEP_2)
	v_add_co_u32 v4, vcc_lo, v4, v9
	s_wait_alu 0xfffd
	v_add_co_ci_u32_e32 v4, vcc_lo, v7, v10, vcc_lo
	s_wait_alu 0xfffd
	v_add_co_ci_u32_e32 v7, vcc_lo, 0, v12, vcc_lo
	s_delay_alu instid0(VALU_DEP_2) | instskip(SKIP_1) | instid1(VALU_DEP_2)
	v_add_co_u32 v4, vcc_lo, v4, v11
	s_wait_alu 0xfffd
	v_add_co_ci_u32_e32 v9, vcc_lo, 0, v7, vcc_lo
	s_delay_alu instid0(VALU_DEP_2) | instskip(SKIP_1) | instid1(VALU_DEP_3)
	v_mul_lo_u32 v10, s19, v4
	v_mad_co_u64_u32 v[7:8], null, s18, v4, 0
	v_mul_lo_u32 v11, s18, v9
	s_delay_alu instid0(VALU_DEP_2) | instskip(NEXT) | instid1(VALU_DEP_2)
	v_sub_co_u32 v7, vcc_lo, v5, v7
	v_add3_u32 v8, v8, v11, v10
	s_delay_alu instid0(VALU_DEP_1) | instskip(SKIP_1) | instid1(VALU_DEP_1)
	v_sub_nc_u32_e32 v10, v6, v8
	s_wait_alu 0xfffd
	v_subrev_co_ci_u32_e64 v10, s2, s19, v10, vcc_lo
	v_add_co_u32 v11, s2, v4, 2
	s_wait_alu 0xf1ff
	v_add_co_ci_u32_e64 v12, s2, 0, v9, s2
	v_sub_co_u32 v13, s2, v7, s18
	v_sub_co_ci_u32_e32 v8, vcc_lo, v6, v8, vcc_lo
	s_wait_alu 0xf1ff
	v_subrev_co_ci_u32_e64 v10, s2, 0, v10, s2
	s_delay_alu instid0(VALU_DEP_3) | instskip(NEXT) | instid1(VALU_DEP_3)
	v_cmp_le_u32_e32 vcc_lo, s18, v13
	v_cmp_eq_u32_e64 s2, s19, v8
	s_wait_alu 0xfffd
	v_cndmask_b32_e64 v13, 0, -1, vcc_lo
	v_cmp_le_u32_e32 vcc_lo, s19, v10
	s_wait_alu 0xfffd
	v_cndmask_b32_e64 v14, 0, -1, vcc_lo
	v_cmp_le_u32_e32 vcc_lo, s18, v7
	;; [unrolled: 3-line block ×3, first 2 shown]
	s_wait_alu 0xfffd
	v_cndmask_b32_e64 v15, 0, -1, vcc_lo
	v_cmp_eq_u32_e32 vcc_lo, s19, v10
	s_wait_alu 0xf1ff
	s_delay_alu instid0(VALU_DEP_2)
	v_cndmask_b32_e64 v7, v15, v7, s2
	s_wait_alu 0xfffd
	v_cndmask_b32_e32 v10, v14, v13, vcc_lo
	v_add_co_u32 v13, vcc_lo, v4, 1
	s_wait_alu 0xfffd
	v_add_co_ci_u32_e32 v14, vcc_lo, 0, v9, vcc_lo
	s_delay_alu instid0(VALU_DEP_3) | instskip(SKIP_2) | instid1(VALU_DEP_3)
	v_cmp_ne_u32_e32 vcc_lo, 0, v10
	s_wait_alu 0xfffd
	v_cndmask_b32_e32 v10, v13, v11, vcc_lo
	v_cndmask_b32_e32 v8, v14, v12, vcc_lo
	v_cmp_ne_u32_e32 vcc_lo, 0, v7
	s_wait_alu 0xfffd
	s_delay_alu instid0(VALU_DEP_2)
	v_dual_cndmask_b32 v7, v4, v10 :: v_dual_cndmask_b32 v8, v9, v8
.LBB0_4:                                ;   in Loop: Header=BB0_2 Depth=1
	s_wait_alu 0xfffe
	s_and_not1_saveexec_b32 s2, s20
	s_cbranch_execz .LBB0_6
; %bb.5:                                ;   in Loop: Header=BB0_2 Depth=1
	v_cvt_f32_u32_e32 v4, s18
	s_sub_co_i32 s20, 0, s18
	s_delay_alu instid0(VALU_DEP_1) | instskip(NEXT) | instid1(TRANS32_DEP_1)
	v_rcp_iflag_f32_e32 v4, v4
	v_mul_f32_e32 v4, 0x4f7ffffe, v4
	s_delay_alu instid0(VALU_DEP_1) | instskip(SKIP_1) | instid1(VALU_DEP_1)
	v_cvt_u32_f32_e32 v4, v4
	s_wait_alu 0xfffe
	v_mul_lo_u32 v7, s20, v4
	s_delay_alu instid0(VALU_DEP_1) | instskip(NEXT) | instid1(VALU_DEP_1)
	v_mul_hi_u32 v7, v4, v7
	v_add_nc_u32_e32 v4, v4, v7
	s_delay_alu instid0(VALU_DEP_1) | instskip(NEXT) | instid1(VALU_DEP_1)
	v_mul_hi_u32 v4, v5, v4
	v_mul_lo_u32 v7, v4, s18
	v_add_nc_u32_e32 v8, 1, v4
	s_delay_alu instid0(VALU_DEP_2) | instskip(NEXT) | instid1(VALU_DEP_1)
	v_sub_nc_u32_e32 v7, v5, v7
	v_subrev_nc_u32_e32 v9, s18, v7
	v_cmp_le_u32_e32 vcc_lo, s18, v7
	s_wait_alu 0xfffd
	s_delay_alu instid0(VALU_DEP_2) | instskip(NEXT) | instid1(VALU_DEP_1)
	v_dual_cndmask_b32 v7, v7, v9 :: v_dual_cndmask_b32 v4, v4, v8
	v_cmp_le_u32_e32 vcc_lo, s18, v7
	s_delay_alu instid0(VALU_DEP_2) | instskip(SKIP_1) | instid1(VALU_DEP_1)
	v_add_nc_u32_e32 v8, 1, v4
	s_wait_alu 0xfffd
	v_dual_cndmask_b32 v7, v4, v8 :: v_dual_mov_b32 v8, v3
.LBB0_6:                                ;   in Loop: Header=BB0_2 Depth=1
	s_wait_alu 0xfffe
	s_or_b32 exec_lo, exec_lo, s2
	s_load_b64 s[20:21], s[12:13], 0x0
	s_delay_alu instid0(VALU_DEP_1)
	v_mul_lo_u32 v4, v8, s18
	v_mul_lo_u32 v11, v7, s19
	v_mad_co_u64_u32 v[9:10], null, v7, s18, 0
	s_add_nc_u64 s[14:15], s[14:15], 1
	s_add_nc_u64 s[12:13], s[12:13], 8
	s_wait_alu 0xfffe
	v_cmp_ge_u64_e64 s2, s[14:15], s[6:7]
	s_add_nc_u64 s[16:17], s[16:17], 8
	s_delay_alu instid0(VALU_DEP_2) | instskip(NEXT) | instid1(VALU_DEP_3)
	v_add3_u32 v4, v10, v11, v4
	v_sub_co_u32 v5, vcc_lo, v5, v9
	s_wait_alu 0xfffd
	s_delay_alu instid0(VALU_DEP_2) | instskip(SKIP_3) | instid1(VALU_DEP_2)
	v_sub_co_ci_u32_e32 v4, vcc_lo, v6, v4, vcc_lo
	s_and_b32 vcc_lo, exec_lo, s2
	s_wait_kmcnt 0x0
	v_mul_lo_u32 v6, s21, v5
	v_mul_lo_u32 v4, s20, v4
	v_mad_co_u64_u32 v[1:2], null, s20, v5, v[1:2]
	s_delay_alu instid0(VALU_DEP_1)
	v_add3_u32 v2, v6, v2, v4
	s_wait_alu 0xfffe
	s_cbranch_vccnz .LBB0_9
; %bb.7:                                ;   in Loop: Header=BB0_2 Depth=1
	v_dual_mov_b32 v5, v7 :: v_dual_mov_b32 v6, v8
	s_branch .LBB0_2
.LBB0_8:
	v_dual_mov_b32 v8, v6 :: v_dual_mov_b32 v7, v5
.LBB0_9:
	s_lshl_b64 s[2:3], s[6:7], 3
	v_and_b32_e32 v206, 15, v0
	s_wait_alu 0xfffe
	s_add_nc_u64 s[2:3], s[10:11], s[2:3]
	s_load_b64 s[2:3], s[2:3], 0x0
	s_load_b64 s[0:1], s[0:1], 0x20
	v_or_b32_e32 v203, 16, v206
	v_or_b32_e32 v204, 32, v206
	;; [unrolled: 1-line block ×3, first 2 shown]
	s_wait_kmcnt 0x0
	v_mul_lo_u32 v3, s2, v8
	v_mul_lo_u32 v4, s3, v7
	v_mad_co_u64_u32 v[0:1], null, s2, v7, v[1:2]
	v_cmp_gt_u64_e32 vcc_lo, s[0:1], v[7:8]
	v_cmp_le_u64_e64 s0, s[0:1], v[7:8]
	s_delay_alu instid0(VALU_DEP_3) | instskip(NEXT) | instid1(VALU_DEP_2)
	v_add3_u32 v1, v4, v1, v3
	s_and_saveexec_b32 s1, s0
	s_wait_alu 0xfffe
	s_xor_b32 s0, exec_lo, s1
; %bb.10:
	v_or_b32_e32 v203, 16, v206
	v_or_b32_e32 v204, 32, v206
	;; [unrolled: 1-line block ×3, first 2 shown]
; %bb.11:
	s_wait_alu 0xfffe
	s_or_saveexec_b32 s1, s0
	v_lshlrev_b64_e32 v[172:173], 4, v[0:1]
	v_lshlrev_b32_e32 v202, 4, v206
                                        ; implicit-def: $vgpr62_vgpr63
                                        ; implicit-def: $vgpr94_vgpr95
                                        ; implicit-def: $vgpr24_vgpr25
                                        ; implicit-def: $vgpr16_vgpr17
                                        ; implicit-def: $vgpr58_vgpr59
                                        ; implicit-def: $vgpr82_vgpr83
                                        ; implicit-def: $vgpr20_vgpr21
                                        ; implicit-def: $vgpr48_vgpr49
                                        ; implicit-def: $vgpr90_vgpr91
                                        ; implicit-def: $vgpr74_vgpr75
                                        ; implicit-def: $vgpr66_vgpr67
                                        ; implicit-def: $vgpr70_vgpr71
                                        ; implicit-def: $vgpr122_vgpr123
                                        ; implicit-def: $vgpr114_vgpr115
                                        ; implicit-def: $vgpr78_vgpr79
                                        ; implicit-def: $vgpr86_vgpr87
                                        ; implicit-def: $vgpr106_vgpr107
                                        ; implicit-def: $vgpr98_vgpr99
                                        ; implicit-def: $vgpr130_vgpr131
                                        ; implicit-def: $vgpr102_vgpr103
                                        ; implicit-def: $vgpr28_vgpr29
                                        ; implicit-def: $vgpr52_vgpr53
                                        ; implicit-def: $vgpr126_vgpr127
                                        ; implicit-def: $vgpr134_vgpr135
                                        ; implicit-def: $vgpr36_vgpr37
                                        ; implicit-def: $vgpr12_vgpr13
                                        ; implicit-def: $vgpr110_vgpr111
                                        ; implicit-def: $vgpr118_vgpr119
                                        ; implicit-def: $vgpr32_vgpr33
                                        ; implicit-def: $vgpr4_vgpr5
	s_wait_alu 0xfffe
	s_xor_b32 exec_lo, exec_lo, s1
; %bb.12:
	s_delay_alu instid0(VALU_DEP_2) | instskip(SKIP_2) | instid1(VALU_DEP_2)
	v_add_co_u32 v0, s0, s8, v172
	s_wait_alu 0xf1ff
	v_add_co_ci_u32_e64 v1, s0, s9, v173, s0
	v_add_co_u32 v0, s0, v0, v202
	s_wait_alu 0xf1ff
	s_delay_alu instid0(VALU_DEP_2)
	v_add_co_ci_u32_e64 v1, s0, 0, v1, s0
	s_clause 0x1d
	global_load_b128 v[2:5], v[0:1], off
	global_load_b128 v[34:37], v[0:1], off offset:256
	global_load_b128 v[30:33], v[0:1], off offset:1536
	;; [unrolled: 1-line block ×29, first 2 shown]
; %bb.13:
	s_or_b32 exec_lo, exec_lo, s1
	s_wait_loadcnt 0x7
	v_add_f64_e32 v[0:1], v[110:111], v[118:119]
	s_wait_loadcnt 0x3
	v_add_f64_e32 v[6:7], v[94:95], v[58:59]
	v_add_f64_e32 v[8:9], v[90:91], v[126:127]
	s_wait_loadcnt 0x1
	v_add_f64_e32 v[39:40], v[74:75], v[134:135]
	v_add_f64_e32 v[41:42], v[108:109], v[116:117]
	;; [unrolled: 1-line block ×3, first 2 shown]
	v_add_f64_e64 v[54:55], v[92:93], -v[56:57]
	v_add_f64_e64 v[136:137], v[116:117], -v[108:109]
	v_add_f64_e32 v[140:141], v[88:89], v[124:125]
	v_add_f64_e32 v[142:143], v[72:73], v[132:133]
	v_add_f64_e64 v[144:145], v[132:133], -v[72:73]
	v_add_f64_e64 v[146:147], v[124:125], -v[88:89]
	s_mov_b32 s12, 0x134454ff
	s_mov_b32 s13, 0xbfee6f0e
	;; [unrolled: 1-line block ×4, first 2 shown]
	v_add_f64_e64 v[162:163], v[94:95], -v[118:119]
	v_add_f64_e64 v[164:165], v[58:59], -v[110:111]
	;; [unrolled: 1-line block ×4, first 2 shown]
	v_add_f64_e32 v[170:171], v[22:23], v[14:15]
	v_add_f64_e32 v[174:175], v[10:11], v[30:31]
	v_add_f64_e64 v[180:181], v[94:95], -v[58:59]
	v_add_f64_e64 v[178:179], v[118:119], -v[110:111]
	;; [unrolled: 1-line block ×4, first 2 shown]
	v_add_f64_e32 v[186:187], v[46:47], v[50:51]
	v_add_f64_e64 v[188:189], v[126:127], -v[134:135]
	v_add_f64_e64 v[194:195], v[90:91], -v[74:75]
	v_add_f64_e32 v[196:197], v[18:19], v[26:27]
	v_add_f64_e64 v[198:199], v[134:135], -v[74:75]
	v_add_f64_e64 v[200:201], v[126:127], -v[90:91]
	s_mov_b32 s10, 0x4755a5e
	s_mov_b32 s11, 0xbfe2cf23
	;; [unrolled: 1-line block ×4, first 2 shown]
	v_add_f64_e64 v[154:155], v[92:93], -v[116:117]
	v_add_f64_e64 v[156:157], v[56:57], -v[108:109]
	v_fma_f64 v[0:1], v[0:1], -0.5, v[62:63]
	v_fma_f64 v[6:7], v[6:7], -0.5, v[62:63]
	;; [unrolled: 1-line block ×6, first 2 shown]
	v_add_f64_e64 v[158:159], v[116:117], -v[92:93]
	v_add_f64_e64 v[160:161], v[108:109], -v[56:57]
	v_fma_f64 v[140:141], v[140:141], -0.5, v[80:81]
	v_fma_f64 v[142:143], v[142:143], -0.5, v[80:81]
	v_add_f64_e64 v[176:177], v[32:33], -v[12:13]
	v_add_f64_e64 v[211:212], v[24:25], -v[16:17]
	v_add_f64_e32 v[213:214], v[30:31], v[2:3]
	v_add_f64_e32 v[60:61], v[60:61], v[92:93]
	v_add_f64_e64 v[92:93], v[132:133], -v[124:125]
	v_add_f64_e64 v[215:216], v[72:73], -v[88:89]
	;; [unrolled: 1-line block ×6, first 2 shown]
	v_add_f64_e32 v[225:226], v[18:19], v[34:35]
	v_add_f64_e32 v[80:81], v[80:81], v[132:133]
	v_fma_f64 v[132:133], v[170:171], -0.5, v[2:3]
	v_add_f64_e32 v[162:163], v[164:165], v[162:163]
	v_fma_f64 v[2:3], v[174:175], -0.5, v[2:3]
	;; [unrolled: 2-line block ×3, first 2 shown]
	v_add_f64_e32 v[168:169], v[184:185], v[182:183]
	s_mov_b32 s14, 0x372fe950
	v_fma_f64 v[34:35], v[196:197], -0.5, v[34:35]
	s_mov_b32 s15, 0x3fd3c6ef
	v_add_f64_e64 v[138:139], v[30:31], -v[22:23]
	v_add_f64_e64 v[148:149], v[10:11], -v[14:15]
	;; [unrolled: 1-line block ×4, first 2 shown]
	s_mov_b32 s16, 0x9b97f4a8
	s_mov_b32 s17, 0x3fe9e377
	v_add_f64_e32 v[154:155], v[156:157], v[154:155]
	s_wait_alu 0xfffe
	v_fma_f64 v[190:191], v[54:55], s[2:3], v[0:1]
	v_fma_f64 v[192:193], v[136:137], s[12:13], v[6:7]
	;; [unrolled: 1-line block ×12, first 2 shown]
	v_add_f64_e32 v[156:157], v[160:161], v[158:159]
	v_add_f64_e32 v[158:159], v[22:23], v[213:214]
	;; [unrolled: 1-line block ×4, first 2 shown]
	s_mov_b32 s19, 0xbfd3c6ef
	v_add_f64_e32 v[160:161], v[219:220], v[217:218]
	s_mov_b32 s1, 0xbfe9e377
	s_mov_b32 s18, s14
	v_add_f64_e32 v[196:197], v[46:47], v[225:226]
	v_add_f64_e32 v[80:81], v[124:125], v[80:81]
	v_fma_f64 v[124:125], v[176:177], s[12:13], v[132:133]
	v_fma_f64 v[132:133], v[176:177], s[2:3], v[132:133]
	s_mov_b32 s0, s16
	s_wait_loadcnt 0x0
	v_add_f64_e32 v[217:218], v[86:87], v[130:131]
	v_add_f64_e64 v[219:220], v[128:129], -v[84:85]
	v_add_f64_e64 v[215:216], v[84:85], -v[112:113]
	;; [unrolled: 1-line block ×6, first 2 shown]
	v_mul_u32_u24_e32 v38, 0x1e0, v38
	v_fma_f64 v[174:175], v[136:137], s[6:7], v[190:191]
	v_fma_f64 v[184:185], v[54:55], s[6:7], v[192:193]
	;; [unrolled: 1-line block ×4, first 2 shown]
	v_add_f64_e32 v[54:55], v[194:195], v[188:189]
	v_fma_f64 v[136:137], v[198:199], s[12:13], v[140:141]
	v_fma_f64 v[140:141], v[198:199], s[2:3], v[140:141]
	;; [unrolled: 1-line block ×8, first 2 shown]
	v_add_f64_e64 v[144:145], v[18:19], -v[46:47]
	v_add_f64_e64 v[146:147], v[26:27], -v[50:51]
	;; [unrolled: 1-line block ×4, first 2 shown]
	v_fma_f64 v[207:208], v[211:212], s[2:3], v[2:3]
	v_fma_f64 v[2:3], v[211:212], s[12:13], v[2:3]
	;; [unrolled: 1-line block ×7, first 2 shown]
	v_add_f64_e32 v[108:109], v[108:109], v[116:117]
	v_add_f64_e32 v[116:117], v[50:51], v[196:197]
	v_add_f64_e64 v[196:197], v[76:77], -v[104:105]
	v_fma_f64 v[60:61], v[162:163], s[14:15], v[174:175]
	v_fma_f64 v[174:175], v[180:181], s[10:11], v[182:183]
	;; [unrolled: 1-line block ×15, first 2 shown]
	v_add_f64_e32 v[8:9], v[148:149], v[138:139]
	v_add_f64_e32 v[39:40], v[152:153], v[150:151]
	;; [unrolled: 1-line block ×6, first 2 shown]
	v_fma_f64 v[148:149], v[211:212], s[10:11], v[124:125]
	v_fma_f64 v[150:151], v[211:212], s[6:7], v[132:133]
	;; [unrolled: 1-line block ×8, first 2 shown]
	v_add_f64_e32 v[56:57], v[56:57], v[108:109]
	v_add_f64_e32 v[116:117], v[26:27], v[116:117]
	v_add_f64_e64 v[194:195], v[68:69], -v[96:97]
	v_add_f64_e64 v[198:199], v[96:97], -v[68:69]
	;; [unrolled: 1-line block ×5, first 2 shown]
	v_add_f64_e32 v[209:210], v[104:105], v[96:97]
	v_add_f64_e64 v[223:224], v[120:121], -v[128:129]
	v_mul_f64_e32 v[41:42], s[10:11], v[60:61]
	v_fma_f64 v[132:133], v[156:157], s[14:15], v[174:175]
	v_mul_f64_e32 v[154:155], s[12:13], v[178:179]
	v_fma_f64 v[174:175], v[156:157], s[14:15], v[43:44]
	;; [unrolled: 2-line block ×3, first 2 shown]
	v_fma_f64 v[6:7], v[221:222], s[6:7], v[6:7]
	v_fma_f64 v[124:125], v[92:93], s[14:15], v[136:137]
	;; [unrolled: 1-line block ×3, first 2 shown]
	v_mul_f64_e32 v[92:93], s[10:11], v[184:185]
	v_fma_f64 v[192:193], v[160:161], s[14:15], v[162:163]
	v_mul_f64_e32 v[136:137], s[12:13], v[34:35]
	v_fma_f64 v[176:177], v[160:161], s[14:15], v[142:143]
	v_mul_f64_e32 v[140:141], s[12:13], v[188:189]
	v_mul_f64_e32 v[142:143], s[10:11], v[186:187]
	v_add_f64_e32 v[160:161], v[68:69], v[76:77]
	v_add_f64_e32 v[162:163], v[122:123], v[114:115]
	v_mul_f64_e32 v[43:44], s[12:13], v[182:183]
	v_add_f64_e32 v[144:145], v[10:11], v[144:145]
	v_add_f64_e32 v[72:73], v[72:73], v[146:147]
	v_fma_f64 v[108:109], v[8:9], s[14:15], v[148:149]
	v_fma_f64 v[8:9], v[8:9], s[14:15], v[150:151]
	;; [unrolled: 1-line block ×6, first 2 shown]
	s_wait_alu 0xfffe
	v_fma_f64 v[154:155], v[80:81], s[0:1], v[156:157]
	v_fma_f64 v[156:157], v[54:55], s[14:15], v[158:159]
	;; [unrolled: 1-line block ×9, first 2 shown]
	v_fma_f64 v[213:214], v[160:161], -0.5, v[64:65]
	v_fma_f64 v[221:222], v[162:163], -0.5, v[102:103]
	v_fma_f64 v[43:44], v[174:175], s[18:19], v[43:44]
	v_add_f64_e32 v[39:40], v[56:57], v[144:145]
	v_add_f64_e64 v[138:139], v[144:145], -v[56:57]
	v_add_f64_e64 v[158:159], v[116:117], -v[72:73]
	v_add_f64_e32 v[41:42], v[108:109], v[148:149]
	v_add_f64_e64 v[140:141], v[108:109], -v[148:149]
	v_add_f64_e64 v[142:143], v[150:151], -v[152:153]
	v_add_f64_e32 v[144:145], v[152:153], v[150:151]
	v_add_f64_e32 v[136:137], v[8:9], v[154:155]
	v_add_f64_e64 v[150:151], v[8:9], -v[154:155]
	v_add_f64_e32 v[152:153], v[72:73], v[116:117]
	v_add_f64_e64 v[8:9], v[114:115], -v[86:87]
	v_add_f64_e32 v[108:109], v[215:216], v[207:208]
	v_add_f64_e32 v[154:155], v[156:157], v[92:93]
	v_add_f64_e64 v[160:161], v[156:157], -v[92:93]
	v_add_f64_e64 v[162:163], v[0:1], -v[164:165]
	v_add_f64_e32 v[164:165], v[0:1], v[164:165]
	v_add_f64_e32 v[166:167], v[6:7], v[168:169]
	;; [unrolled: 1-line block ×3, first 2 shown]
	v_add_f64_e64 v[168:169], v[6:7], -v[168:169]
	v_add_f64_e64 v[170:171], v[54:55], -v[170:171]
	;; [unrolled: 1-line block ×3, first 2 shown]
	v_add_f64_e32 v[6:7], v[196:197], v[194:195]
	v_add_f64_e32 v[54:55], v[200:201], v[198:199]
	v_fma_f64 v[72:73], v[211:212], s[12:13], v[213:214]
	v_fma_f64 v[92:93], v[217:218], -0.5, v[102:103]
	v_fma_f64 v[116:117], v[219:220], s[2:3], v[221:222]
	v_fma_f64 v[194:195], v[219:220], s[12:13], v[221:222]
	v_add_f64_e32 v[196:197], v[120:121], v[112:113]
	v_add_f64_e32 v[200:201], v[84:85], v[128:129]
	v_add_f64_e32 v[146:147], v[43:44], v[2:3]
	v_add_f64_e64 v[148:149], v[2:3], -v[43:44]
	v_add_f64_e64 v[2:3], v[122:123], -v[130:131]
	v_fma_f64 v[43:44], v[209:210], -0.5, v[64:65]
	v_add_f64_e64 v[215:216], v[122:123], -v[114:115]
	v_fma_f64 v[56:57], v[211:212], s[2:3], v[213:214]
	v_add_f64_e32 v[198:199], v[229:230], v[227:228]
	v_add_f64_e32 v[207:208], v[225:226], v[223:224]
	v_fma_f64 v[209:210], v[231:232], s[6:7], v[72:73]
	v_fma_f64 v[72:73], v[0:1], s[12:13], v[92:93]
	;; [unrolled: 1-line block ×5, first 2 shown]
	v_add_f64_e64 v[194:195], v[130:131], -v[86:87]
	v_fma_f64 v[196:197], v[196:197], -0.5, v[100:101]
	v_fma_f64 v[200:201], v[200:201], -0.5, v[100:101]
	v_add_f64_e32 v[2:3], v[8:9], v[2:3]
	v_fma_f64 v[8:9], v[231:232], s[12:13], v[43:44]
	v_fma_f64 v[43:44], v[231:232], s[2:3], v[43:44]
	;; [unrolled: 1-line block ×11, first 2 shown]
	v_lshlrev_b32_e32 v211, 3, v38
	v_mul_u32_u24_e32 v38, 10, v206
	v_lshlrev_b32_e32 v212, 3, v205
	v_fma_f64 v[219:220], v[215:216], s[10:11], v[72:73]
	v_fma_f64 v[215:216], v[215:216], s[6:7], v[196:197]
	;; [unrolled: 1-line block ×8, first 2 shown]
	v_add_f64_e32 v[0:1], v[64:65], v[68:69]
	v_add_f64_e32 v[2:3], v[128:129], v[100:101]
	v_fma_f64 v[92:93], v[54:55], s[14:15], v[56:57]
	v_fma_f64 v[100:101], v[54:55], s[14:15], v[209:210]
	v_fma_f64 v[8:9], v[6:7], s[14:15], v[8:9]
	v_fma_f64 v[43:44], v[6:7], s[14:15], v[43:44]
	v_fma_f64 v[128:129], v[108:109], s[14:15], v[219:220]
	v_fma_f64 v[200:201], v[207:208], s[14:15], v[217:218]
	v_fma_f64 v[64:65], v[207:208], s[14:15], v[221:222]
	v_mul_f64_e32 v[54:55], s[10:11], v[72:73]
	v_mul_f64_e32 v[56:57], s[12:13], v[194:195]
	v_add_f64_e32 v[0:1], v[0:1], v[96:97]
	v_add_f64_e32 v[2:3], v[120:121], v[2:3]
	v_fma_f64 v[120:121], v[108:109], s[14:15], v[215:216]
	v_mul_f64_e32 v[108:109], s[10:11], v[196:197]
	v_fma_f64 v[54:55], v[128:129], s[16:17], v[54:55]
	v_add_f64_e32 v[0:1], v[104:105], v[0:1]
	v_add_f64_e32 v[2:3], v[112:113], v[2:3]
	v_mul_f64_e32 v[112:113], s[12:13], v[198:199]
	v_fma_f64 v[108:109], v[120:121], s[0:1], v[108:109]
	v_cmp_gt_u32_e64 s0, 12, v206
	v_add_f64_e32 v[209:210], v[8:9], v[54:55]
	v_add_f64_e64 v[54:55], v[8:9], -v[54:55]
	v_add_f64_e32 v[0:1], v[76:77], v[0:1]
	v_add_f64_e32 v[2:3], v[84:85], v[2:3]
	v_fma_f64 v[84:85], v[200:201], s[14:15], v[56:57]
	v_fma_f64 v[112:113], v[64:65], s[18:19], v[112:113]
	v_add_f64_e32 v[6:7], v[43:44], v[108:109]
	s_delay_alu instid0(VALU_DEP_4) | instskip(NEXT) | instid1(VALU_DEP_4)
	v_add_f64_e32 v[207:208], v[0:1], v[2:3]
	v_add_f64_e32 v[214:215], v[92:93], v[84:85]
	s_delay_alu instid0(VALU_DEP_4)
	v_add_f64_e32 v[216:217], v[100:101], v[112:113]
	v_add_f64_e64 v[8:9], v[0:1], -v[2:3]
	v_add_f64_e64 v[56:57], v[92:93], -v[84:85]
	;; [unrolled: 1-line block ×4, first 2 shown]
	v_add_nc_u32_e32 v43, 0, v211
	s_delay_alu instid0(VALU_DEP_1)
	v_lshl_add_u32 v84, v38, 3, v43
	v_mul_i32_i24_e32 v38, 10, v203
	ds_store_b128 v84, v[39:42]
	ds_store_b128 v84, v[144:147] offset:16
	v_mul_i32_i24_e32 v39, 10, v204
	v_lshl_add_u32 v213, v38, 3, v43
	v_lshlrev_b32_e32 v38, 3, v206
	ds_store_b128 v84, v[136:139] offset:32
	ds_store_b128 v84, v[140:143] offset:48
	;; [unrolled: 1-line block ×3, first 2 shown]
                                        ; implicit-def: $vgpr138_vgpr139
	v_lshl_add_u32 v85, v39, 3, v43
	ds_store_b128 v213, v[152:155]
	ds_store_b128 v213, v[164:167] offset:16
	ds_store_b128 v213, v[156:159] offset:32
	;; [unrolled: 1-line block ×4, first 2 shown]
	ds_store_b128 v85, v[207:210]
	ds_store_b128 v85, v[214:217] offset:16
	ds_store_b128 v85, v[6:9] offset:32
	;; [unrolled: 1-line block ×4, first 2 shown]
	v_add3_u32 v210, 0, v38, v211
	v_add_nc_u32_e32 v207, v43, v38
	v_lshl_add_u32 v209, v204, 3, v43
	v_lshl_add_u32 v208, v203, 3, v43
	global_wb scope:SCOPE_SE
	s_wait_dscnt 0x0
	s_barrier_signal -1
	s_barrier_wait -1
	global_inv scope:SCOPE_SE
	v_add_nc_u32_e32 v214, 0x800, v210
	ds_load_b64 v[112:113], v207
	ds_load_b64 v[92:93], v209
	;; [unrolled: 1-line block ×3, first 2 shown]
	ds_load_b64 v[116:117], v210 offset:3616
                                        ; implicit-def: $vgpr108_vgpr109
	ds_load_2addr_b64 v[152:155], v210 offset0:60 offset1:76
	ds_load_2addr_b64 v[144:147], v210 offset0:92 offset1:120
	;; [unrolled: 1-line block ×8, first 2 shown]
	ds_load_2addr_b64 v[42:45], v214 offset1:16
	ds_load_2addr_b64 v[156:159], v214 offset0:120 offset1:136
	s_and_saveexec_b32 s1, s0
	s_cbranch_execz .LBB0_15
; %bb.14:
	v_add_nc_u32_e32 v0, 0x400, v210
	ds_load_2addr_b64 v[215:218], v210 offset0:108 offset1:168
	ds_load_2addr_b64 v[136:139], v214 offset0:92 offset1:152
	;; [unrolled: 1-line block ×3, first 2 shown]
	v_add3_u32 v0, 0, v212, v211
	ds_load_b64 v[6:7], v0
	ds_load_b64 v[108:109], v210 offset:3744
	s_wait_dscnt 0x4
	v_mov_b32_e32 v8, v215
	s_wait_dscnt 0x3
	v_mov_b32_e32 v2, v136
	;; [unrolled: 2-line block ×3, first 2 shown]
	v_mov_b32_e32 v0, v221
	v_dual_mov_b32 v54, v217 :: v_dual_mov_b32 v55, v218
	v_mov_b32_e32 v9, v216
	v_mov_b32_e32 v3, v137
	;; [unrolled: 1-line block ×4, first 2 shown]
.LBB0_15:
	s_wait_alu 0xfffe
	s_or_b32 exec_lo, exec_lo, s1
	v_add_f64_e32 v[136:137], v[24:25], v[16:17]
	v_add_f64_e32 v[215:216], v[12:13], v[32:33]
	;; [unrolled: 1-line block ×7, first 2 shown]
	v_add_f64_e64 v[10:11], v[30:31], -v[10:11]
	v_add_f64_e32 v[30:31], v[62:63], v[94:95]
	v_add_f64_e32 v[62:63], v[20:21], v[36:37]
	;; [unrolled: 1-line block ×5, first 2 shown]
	v_add_f64_e64 v[14:15], v[22:23], -v[14:15]
	v_add_f64_e64 v[18:19], v[18:19], -v[26:27]
	;; [unrolled: 1-line block ×11, first 2 shown]
	v_mul_f64_e32 v[190:191], s[6:7], v[190:191]
	v_mul_f64_e32 v[178:179], s[14:15], v[178:179]
	;; [unrolled: 1-line block ×8, first 2 shown]
	global_wb scope:SCOPE_SE
	s_wait_dscnt 0x0
	s_barrier_signal -1
	s_barrier_wait -1
	global_inv scope:SCOPE_SE
	v_fma_f64 v[22:23], v[136:137], -0.5, v[4:5]
	v_fma_f64 v[4:5], v[215:216], -0.5, v[4:5]
	v_fma_f64 v[46:47], v[217:218], -0.5, v[36:37]
	v_fma_f64 v[36:37], v[219:220], -0.5, v[36:37]
	v_fma_f64 v[76:77], v[221:222], -0.5, v[66:67]
	v_fma_f64 v[66:67], v[223:224], -0.5, v[66:67]
	v_add_f64_e32 v[24:25], v[24:25], v[225:226]
	v_add_f64_e64 v[217:218], v[70:71], -v[98:99]
	v_add_f64_e32 v[30:31], v[30:31], v[118:119]
	v_add_f64_e32 v[62:63], v[48:49], v[62:63]
	;; [unrolled: 1-line block ×5, first 2 shown]
	v_add_f64_e64 v[118:119], v[16:17], -v[12:13]
	v_add_f64_e64 v[48:49], v[52:53], -v[28:29]
	;; [unrolled: 1-line block ×5, first 2 shown]
	v_add_f64_e32 v[96:97], v[104:105], v[96:97]
	v_fma_f64 v[60:61], v[60:61], s[16:17], v[190:191]
	v_fma_f64 v[88:89], v[88:89], s[6:7], -v[186:187]
	v_fma_f64 v[122:123], v[10:11], s[2:3], v[22:23]
	v_fma_f64 v[126:127], v[14:15], s[12:13], v[4:5]
	;; [unrolled: 1-line block ×12, first 2 shown]
	v_add_f64_e32 v[16:17], v[16:17], v[24:25]
	v_add_f64_e32 v[24:25], v[110:111], v[30:31]
	;; [unrolled: 1-line block ×11, first 2 shown]
	v_fma_f64 v[90:91], v[14:15], s[6:7], v[122:123]
	v_fma_f64 v[94:95], v[10:11], s[6:7], v[126:127]
	;; [unrolled: 1-line block ×8, first 2 shown]
	v_mul_f64_e32 v[14:15], s[6:7], v[128:129]
	v_fma_f64 v[98:99], v[68:69], s[6:7], v[221:222]
	v_mul_f64_e32 v[22:23], s[2:3], v[200:201]
	v_mul_f64_e32 v[36:37], s[14:15], v[198:199]
	v_fma_f64 v[110:111], v[50:51], s[6:7], v[223:224]
	v_fma_f64 v[50:51], v[50:51], s[10:11], v[66:67]
	v_mul_f64_e32 v[46:47], s[16:17], v[196:197]
	v_fma_f64 v[66:67], v[68:69], s[10:11], v[76:77]
	v_add_f64_e32 v[12:13], v[12:13], v[16:17]
	v_add_f64_e32 v[16:17], v[58:59], v[24:25]
	;; [unrolled: 1-line block ×3, first 2 shown]
	v_fma_f64 v[68:69], v[132:133], s[2:3], v[178:179]
	v_fma_f64 v[76:77], v[174:175], s[2:3], -v[182:183]
	v_add_f64_e32 v[28:29], v[28:29], v[30:31]
	v_add_f64_e32 v[52:53], v[74:75], v[52:53]
	v_fma_f64 v[74:75], v[80:81], s[6:7], -v[180:181]
	v_add_f64_e32 v[62:63], v[86:87], v[82:83]
	v_fma_f64 v[82:83], v[124:125], s[6:7], v[184:185]
	v_fma_f64 v[86:87], v[34:35], s[14:15], v[192:193]
	;; [unrolled: 1-line block ×7, first 2 shown]
	v_fma_f64 v[90:91], v[176:177], s[2:3], -v[188:189]
	v_fma_f64 v[94:95], v[20:21], s[14:15], v[104:105]
	v_fma_f64 v[96:97], v[20:21], s[14:15], v[18:19]
	;; [unrolled: 1-line block ×6, first 2 shown]
	v_fma_f64 v[104:105], v[64:65], s[2:3], -v[36:37]
	v_fma_f64 v[110:111], v[70:71], s[14:15], v[110:111]
	v_fma_f64 v[118:119], v[70:71], s[14:15], v[50:51]
	v_fma_f64 v[114:115], v[120:121], s[6:7], -v[46:47]
	v_fma_f64 v[106:107], v[106:107], s[14:15], v[66:67]
	v_add_f64_e32 v[18:19], v[16:17], v[12:13]
	v_add_f64_e64 v[24:25], v[12:13], -v[16:17]
	v_add_f64_e32 v[30:31], v[52:53], v[28:29]
	v_add_f64_e64 v[36:37], v[28:29], -v[52:53]
	v_add_f64_e32 v[46:47], v[58:59], v[62:63]
	v_add_f64_e64 v[12:13], v[58:59], -v[62:63]
	v_add_f64_e32 v[20:21], v[78:79], v[60:61]
	v_add_f64_e32 v[50:51], v[80:81], v[68:69]
	v_add_f64_e32 v[52:53], v[4:5], v[76:77]
	v_add_f64_e32 v[22:23], v[10:11], v[74:75]
	v_add_f64_e64 v[58:59], v[78:79], -v[60:61]
	v_add_f64_e64 v[60:61], v[80:81], -v[68:69]
	v_add_f64_e64 v[62:63], v[4:5], -v[76:77]
	v_add_f64_e64 v[64:65], v[10:11], -v[74:75]
	v_add_f64_e32 v[32:33], v[48:49], v[82:83]
	v_add_f64_e32 v[66:67], v[94:95], v[86:87]
	v_add_f64_e32 v[68:69], v[96:97], v[90:91]
	v_add_f64_e32 v[34:35], v[26:27], v[88:89]
	v_add_f64_e64 v[70:71], v[48:49], -v[82:83]
	v_add_f64_e64 v[72:73], v[94:95], -v[86:87]
	v_add_f64_e64 v[74:75], v[96:97], -v[90:91]
	v_add_f64_e64 v[76:77], v[26:27], -v[88:89]
	;; [unrolled: 8-line block ×3, first 2 shown]
                                        ; implicit-def: $vgpr96_vgpr97
	ds_store_b128 v84, v[18:21]
	ds_store_b128 v84, v[50:53] offset:16
	ds_store_b128 v84, v[22:25] offset:32
	ds_store_b128 v84, v[58:61] offset:48
	ds_store_b128 v84, v[62:65] offset:64
	ds_store_b128 v213, v[30:33]
	ds_store_b128 v213, v[66:69] offset:16
	ds_store_b128 v213, v[34:37] offset:32
	ds_store_b128 v213, v[70:73] offset:48
	ds_store_b128 v213, v[74:77] offset:64
	;; [unrolled: 5-line block ×3, first 2 shown]
	global_wb scope:SCOPE_SE
	s_wait_dscnt 0x0
	s_barrier_signal -1
	s_barrier_wait -1
	global_inv scope:SCOPE_SE
	ds_load_b64 v[4:5], v207
	ds_load_2addr_b64 v[62:65], v210 offset0:60 offset1:76
	ds_load_2addr_b64 v[58:61], v210 offset0:92 offset1:120
	;; [unrolled: 1-line block ×8, first 2 shown]
	ds_load_2addr_b64 v[22:25], v214 offset1:16
	ds_load_2addr_b64 v[74:77], v214 offset0:120 offset1:136
	ds_load_b64 v[90:91], v209
	ds_load_b64 v[94:95], v208
	ds_load_b64 v[98:99], v210 offset:3616
                                        ; implicit-def: $vgpr32_vgpr33
	s_and_saveexec_b32 s1, s0
	s_cbranch_execz .LBB0_17
; %bb.16:
	v_add_nc_u32_e32 v10, 0x400, v210
	ds_load_2addr_b64 v[34:37], v210 offset0:108 offset1:168
	ds_load_2addr_b64 v[14:17], v10 offset0:100 offset1:160
	v_add_nc_u32_e32 v11, 0x800, v210
	v_add3_u32 v10, 0, v212, v211
	s_wait_dscnt 0x1
	v_mov_b32_e32 v12, v34
	ds_load_2addr_b64 v[30:33], v11 offset0:92 offset1:152
	ds_load_b64 v[10:11], v10
	ds_load_b64 v[96:97], v210 offset:3744
	v_mov_b32_e32 v13, v35
	s_wait_dscnt 0x3
	v_dual_mov_b32 v29, v15 :: v_dual_mov_b32 v28, v14
	v_dual_mov_b32 v14, v16 :: v_dual_mov_b32 v15, v17
	;; [unrolled: 1-line block ×3, first 2 shown]
	s_wait_dscnt 0x2
	v_dual_mov_b32 v16, v30 :: v_dual_mov_b32 v17, v31
.LBB0_17:
	s_wait_alu 0xfffe
	s_or_b32 exec_lo, exec_lo, s1
	v_and_b32_e32 v34, 0xff, v203
	v_dual_mov_b32 v31, 0 :: v_dual_add_nc_u32 v30, -10, v206
	v_cmp_gt_u32_e64 s1, 10, v206
	s_mov_b32 s2, 0x667f3bcd
	s_delay_alu instid0(VALU_DEP_3)
	v_mul_lo_u16 v34, 0xcd, v34
	s_mov_b32 s3, 0x3fe6a09e
	s_mov_b32 s7, 0xbfe6a09e
	s_wait_alu 0xf1ff
	v_cndmask_b32_e64 v126, v30, v206, s1
	s_wait_alu 0xfffe
	s_mov_b32 s6, s2
	v_lshrrev_b16 v129, 11, v34
	s_delay_alu instid0(VALU_DEP_2) | instskip(NEXT) | instid1(VALU_DEP_2)
	v_mul_i32_i24_e32 v30, 7, v126
	v_mul_lo_u16 v34, v129, 10
	v_mul_lo_u16 v129, 0x50, v129
	s_delay_alu instid0(VALU_DEP_3) | instskip(NEXT) | instid1(VALU_DEP_3)
	v_lshlrev_b64_e32 v[30:31], 4, v[30:31]
	v_sub_nc_u16 v128, v203, v34
	s_delay_alu instid0(VALU_DEP_2) | instskip(NEXT) | instid1(VALU_DEP_2)
	v_add_co_u32 v30, s1, s4, v30
	v_mul_lo_u16 v34, v128, 7
	s_wait_alu 0xf1ff
	s_delay_alu instid0(VALU_DEP_4)
	v_add_co_ci_u32_e64 v31, s1, s5, v31, s1
	v_cmp_lt_u32_e64 s1, 9, v206
	v_or_b32_e32 v128, v129, v128
	v_and_b32_e32 v34, 0xff, v34
	global_load_b128 v[102:105], v[30:31], off offset:32
	v_lshlrev_b32_e32 v46, 4, v34
	v_and_b32_e32 v34, 0xff, v204
	s_clause 0x3
	global_load_b128 v[118:121], v46, s[4:5] offset:32
	global_load_b128 v[122:125], v[30:31], off offset:96
	global_load_b128 v[133:136], v46, s[4:5] offset:96
	global_load_b128 v[174:177], v46, s[4:5] offset:16
	v_mul_lo_u16 v34, 0xcd, v34
	s_delay_alu instid0(VALU_DEP_1) | instskip(NEXT) | instid1(VALU_DEP_1)
	v_lshrrev_b16 v131, 11, v34
	v_mul_lo_u16 v34, v131, 10
	v_and_b32_e32 v131, 0xffff, v131
	s_delay_alu instid0(VALU_DEP_2) | instskip(NEXT) | instid1(VALU_DEP_2)
	v_sub_nc_u16 v34, v204, v34
	v_mul_u32_u24_e32 v129, 0x50, v131
	s_delay_alu instid0(VALU_DEP_2) | instskip(NEXT) | instid1(VALU_DEP_1)
	v_and_b32_e32 v130, 0xff, v34
	v_mul_u32_u24_e32 v34, 7, v130
	s_delay_alu instid0(VALU_DEP_3) | instskip(NEXT) | instid1(VALU_DEP_2)
	v_or_b32_e32 v129, v129, v130
	v_lshlrev_b32_e32 v106, 4, v34
	s_delay_alu instid0(VALU_DEP_2)
	v_lshlrev_b32_e32 v129, 3, v129
	s_clause 0xf
	global_load_b128 v[178:181], v106, s[4:5] offset:16
	global_load_b128 v[182:185], v46, s[4:5] offset:80
	;; [unrolled: 1-line block ×4, first 2 shown]
	global_load_b128 v[194:197], v[30:31], off offset:16
	global_load_b128 v[198:201], v[30:31], off offset:80
	global_load_b128 v[213:216], v[30:31], off
	global_load_b128 v[217:220], v46, s[4:5]
	global_load_b128 v[221:224], v[30:31], off offset:64
	global_load_b128 v[225:228], v46, s[4:5] offset:64
	global_load_b128 v[229:232], v106, s[4:5]
	global_load_b128 v[34:37], v[30:31], off offset:48
	global_load_b128 v[46:49], v46, s[4:5] offset:48
	global_load_b128 v[233:236], v106, s[4:5] offset:32
	;; [unrolled: 1-line block ×4, first 2 shown]
	v_and_b32_e32 v30, 0xff, v205
	v_add3_u32 v129, 0, v129, v211
	s_delay_alu instid0(VALU_DEP_2) | instskip(NEXT) | instid1(VALU_DEP_1)
	v_mul_lo_u16 v106, 0xcd, v30
	v_lshrrev_b16 v132, 11, v106
	s_wait_loadcnt_dscnt 0x140a
	v_mul_f64_e32 v[30:31], v[86:87], v[104:105]
	v_mul_f64_e32 v[110:111], v[168:169], v[104:105]
	s_delay_alu instid0(VALU_DEP_3) | instskip(NEXT) | instid1(VALU_DEP_1)
	v_mul_lo_u16 v104, v132, 10
	v_sub_nc_u16 v104, v205, v104
	s_wait_loadcnt 0x13
	v_mul_f64_e32 v[114:115], v[88:89], v[120:121]
	v_mul_f64_e32 v[120:121], v[170:171], v[120:121]
	s_delay_alu instid0(VALU_DEP_3) | instskip(NEXT) | instid1(VALU_DEP_1)
	v_and_b32_e32 v127, 0xff, v104
	v_mul_u32_u24_e32 v104, 7, v127
	s_delay_alu instid0(VALU_DEP_1)
	v_lshlrev_b32_e32 v137, 4, v104
	s_clause 0x1
	global_load_b128 v[104:107], v137, s[4:5]
	global_load_b128 v[241:244], v137, s[4:5] offset:32
	v_fma_f64 v[168:169], v[168:169], v[102:103], v[30:31]
	v_fma_f64 v[102:103], v[86:87], v[102:103], -v[110:111]
	s_wait_loadcnt_dscnt 0x1406
	v_mul_f64_e32 v[30:31], v[82:83], v[124:125]
	v_fma_f64 v[110:111], v[170:171], v[118:119], v[114:115]
	v_fma_f64 v[170:171], v[88:89], v[118:119], -v[120:121]
	s_clause 0x1
	global_load_b128 v[86:89], v137, s[4:5] offset:64
	global_load_b128 v[118:121], v137, s[4:5] offset:96
	v_mul_f64_e32 v[114:115], v[164:165], v[124:125]
	v_fma_f64 v[164:165], v[164:165], v[122:123], v[30:31]
	s_wait_loadcnt 0x15
	v_mul_f64_e32 v[30:31], v[84:85], v[135:136]
	s_delay_alu instid0(VALU_DEP_3) | instskip(SKIP_1) | instid1(VALU_DEP_3)
	v_fma_f64 v[114:115], v[82:83], v[122:123], -v[114:115]
	v_mul_f64_e32 v[82:83], v[166:167], v[135:136]
	v_fma_f64 v[135:136], v[166:167], v[133:134], v[30:31]
	s_wait_loadcnt_dscnt 0x1405
	v_mul_f64_e32 v[30:31], v[78:79], v[176:177]
	v_mul_f64_e32 v[166:167], v[160:161], v[176:177]
	s_wait_loadcnt 0x12
	v_mul_f64_e32 v[176:177], v[156:157], v[184:185]
	v_fma_f64 v[133:134], v[84:85], v[133:134], -v[82:83]
	s_clause 0x1
	global_load_b128 v[82:85], v137, s[4:5] offset:16
	global_load_b128 v[122:125], v137, s[4:5] offset:80
	v_add_f64_e64 v[135:136], v[110:111], -v[135:136]
	v_fma_f64 v[160:161], v[160:161], v[174:175], v[30:31]
	v_fma_f64 v[30:31], v[78:79], v[174:175], -v[166:167]
	v_mul_f64_e32 v[78:79], v[80:81], v[180:181]
	v_mul_f64_e32 v[166:167], v[162:163], v[180:181]
	s_wait_dscnt 0x3
	v_mul_f64_e32 v[174:175], v[74:75], v[184:185]
	s_wait_loadcnt 0x12
	v_mul_f64_e32 v[180:181], v[116:117], v[192:193]
	s_wait_loadcnt 0x10
	v_mul_f64_e32 v[184:185], v[142:143], v[200:201]
	v_add_f64_e64 v[133:134], v[170:171], -v[133:134]
	v_fma_f64 v[110:111], v[110:111], 2.0, -v[135:136]
	v_fma_f64 v[162:163], v[162:163], v[178:179], v[78:79]
	v_fma_f64 v[78:79], v[80:81], v[178:179], -v[166:167]
	v_mul_f64_e32 v[80:81], v[76:77], v[188:189]
	v_mul_f64_e32 v[166:167], v[158:159], v[188:189]
	s_wait_dscnt 0x0
	v_mul_f64_e32 v[178:179], v[98:99], v[192:193]
	v_fma_f64 v[156:157], v[156:157], v[182:183], v[174:175]
	v_fma_f64 v[174:175], v[74:75], v[182:183], -v[176:177]
	v_mul_f64_e32 v[176:177], v[60:61], v[196:197]
	v_mul_f64_e32 v[182:183], v[146:147], v[196:197]
	s_wait_loadcnt 0xe
	v_mul_f64_e32 v[188:189], v[64:65], v[219:220]
	s_wait_loadcnt 0xd
	;; [unrolled: 2-line block ×3, first 2 shown]
	v_mul_f64_e32 v[196:197], v[72:73], v[227:228]
	v_fma_f64 v[98:99], v[98:99], v[190:191], -v[180:181]
	s_wait_loadcnt 0xa
	v_mul_f64_e32 v[180:181], v[20:21], v[36:37]
	v_fma_f64 v[80:81], v[158:159], v[186:187], v[80:81]
	v_mul_f64_e32 v[158:159], v[68:69], v[200:201]
	v_fma_f64 v[166:167], v[76:77], v[186:187], -v[166:167]
	v_mul_f64_e32 v[186:187], v[62:63], v[215:216]
	global_load_b128 v[74:77], v137, s[4:5] offset:48
	v_fma_f64 v[116:117], v[116:117], v[190:191], v[178:179]
	v_mul_f64_e32 v[178:179], v[58:59], v[231:232]
	v_mul_f64_e32 v[190:191], v[152:153], v[215:216]
	v_fma_f64 v[146:147], v[146:147], v[194:195], v[176:177]
	v_fma_f64 v[60:61], v[60:61], v[194:195], -v[182:183]
	v_fma_f64 v[68:69], v[68:69], v[198:199], -v[184:185]
	v_mul_f64_e32 v[184:185], v[154:155], v[219:220]
	v_fma_f64 v[154:155], v[154:155], v[217:218], v[188:189]
	s_wait_loadcnt 0x7
	v_mul_f64_e32 v[188:189], v[66:67], v[239:240]
	v_mul_f64_e32 v[194:195], v[38:39], v[235:236]
	;; [unrolled: 1-line block ×4, first 2 shown]
	v_fma_f64 v[148:149], v[148:149], v[221:222], v[192:193]
	v_fma_f64 v[192:193], v[150:151], v[225:226], v[196:197]
	v_mul_f64_e32 v[150:151], v[150:151], v[227:228]
	v_mul_f64_e32 v[196:197], v[140:141], v[239:240]
	v_fma_f64 v[180:181], v[40:41], v[34:35], v[180:181]
	global_wb scope:SCOPE_SE
	s_wait_loadcnt 0x0
	s_barrier_signal -1
	s_barrier_wait -1
	global_inv scope:SCOPE_SE
	v_fma_f64 v[142:143], v[142:143], v[198:199], v[158:159]
	v_mul_f64_e32 v[158:159], v[18:19], v[235:236]
	v_fma_f64 v[152:153], v[152:153], v[213:214], v[186:187]
	v_mul_f64_e32 v[186:187], v[24:25], v[52:53]
	;; [unrolled: 2-line block ×3, first 2 shown]
	v_fma_f64 v[190:191], v[62:63], v[213:214], -v[190:191]
	v_add_f64_e64 v[62:63], v[30:31], -v[174:175]
	v_fma_f64 v[140:141], v[140:141], v[237:238], v[188:189]
	v_fma_f64 v[188:189], v[18:19], v[233:234], -v[194:195]
	v_fma_f64 v[182:183], v[42:43], v[46:47], v[182:183]
	v_fma_f64 v[70:71], v[70:71], v[221:222], -v[176:177]
	v_fma_f64 v[176:177], v[64:65], v[217:218], -v[184:185]
	v_add_f64_e64 v[64:65], v[162:163], -v[80:81]
	v_fma_f64 v[72:73], v[72:73], v[225:226], -v[150:151]
	v_fma_f64 v[150:151], v[66:67], v[237:238], -v[196:197]
	v_add_f64_e64 v[180:181], v[112:113], -v[180:181]
	v_add_f64_e64 v[66:67], v[78:79], -v[166:167]
	;; [unrolled: 1-line block ×3, first 2 shown]
	v_fma_f64 v[158:159], v[38:39], v[233:234], v[158:159]
	v_add_f64_e64 v[142:143], v[152:153], -v[148:149]
	v_fma_f64 v[186:187], v[44:45], v[50:51], v[186:187]
	v_add_f64_e64 v[148:149], v[168:169], -v[164:165]
	v_add_f64_e64 v[38:39], v[60:61], -v[68:69]
	v_fma_f64 v[144:145], v[58:59], v[229:230], -v[144:145]
	v_add_f64_e64 v[58:59], v[160:161], -v[156:157]
	v_add_f64_e64 v[156:157], v[154:155], -v[192:193]
	v_add_f64_e64 v[68:69], v[102:103], -v[114:115]
	v_add_f64_e64 v[80:81], v[178:179], -v[140:141]
	v_add_f64_e64 v[98:99], v[188:189], -v[98:99]
	v_add_f64_e64 v[114:115], v[100:101], -v[182:183]
	v_add_f64_e64 v[70:71], v[190:191], -v[70:71]
	v_fma_f64 v[162:163], v[162:163], 2.0, -v[64:65]
	v_add_f64_e64 v[72:73], v[176:177], -v[72:73]
	v_fma_f64 v[112:113], v[112:113], 2.0, -v[180:181]
	v_mul_f64_e32 v[194:195], v[12:13], v[106:107]
	v_mul_f64_e32 v[106:107], v[8:9], v[106:107]
	;; [unrolled: 1-line block ×4, first 2 shown]
	v_add_f64_e64 v[116:117], v[158:159], -v[116:117]
	v_add_f64_e64 v[164:165], v[92:93], -v[186:187]
	;; [unrolled: 1-line block ×3, first 2 shown]
	v_add_f64_e32 v[186:187], v[156:157], v[133:134]
	v_fma_f64 v[154:155], v[154:155], 2.0, -v[156:157]
	v_fma_f64 v[178:179], v[178:179], 2.0, -v[80:81]
	v_fma_f64 v[184:185], v[100:101], 2.0, -v[114:115]
	v_fma_f64 v[100:101], v[160:161], 2.0, -v[58:59]
	v_mul_f64_e32 v[140:141], v[16:17], v[88:89]
	v_mul_f64_e32 v[88:89], v[2:3], v[88:89]
	;; [unrolled: 1-line block ×4, first 2 shown]
	v_add_f64_e32 v[160:161], v[114:115], v[62:63]
	v_fma_f64 v[174:175], v[8:9], v[104:105], v[194:195]
	v_fma_f64 v[104:105], v[12:13], v[104:105], -v[106:107]
	v_fma_f64 v[106:107], v[56:57], v[241:242], v[198:199]
	v_fma_f64 v[182:183], v[28:29], v[241:242], -v[200:201]
	v_fma_f64 v[8:9], v[146:147], 2.0, -v[18:19]
	v_fma_f64 v[158:159], v[158:159], 2.0, -v[116:117]
	v_add_f64_e32 v[194:195], v[80:81], v[98:99]
	v_fma_f64 v[92:93], v[92:93], 2.0, -v[164:165]
	v_fma_f64 v[146:147], v[152:153], 2.0, -v[142:143]
	;; [unrolled: 1-line block ×3, first 2 shown]
	v_add_f64_e32 v[152:153], v[180:181], v[38:39]
	v_add_f64_e32 v[168:169], v[142:143], v[68:69]
	;; [unrolled: 1-line block ×3, first 2 shown]
	v_fma_f64 v[28:29], v[190:191], 2.0, -v[70:71]
	v_fma_f64 v[68:69], v[102:103], 2.0, -v[68:69]
	;; [unrolled: 1-line block ×4, first 2 shown]
	v_add_f64_e64 v[116:117], v[150:151], -v[116:117]
	v_fma_f64 v[98:99], v[188:189], 2.0, -v[98:99]
	v_fma_f64 v[140:141], v[2:3], v[86:87], v[140:141]
	v_fma_f64 v[86:87], v[16:17], v[86:87], -v[88:89]
	v_fma_f64 v[88:89], v[96:97], v[118:119], -v[166:167]
	v_fma_f64 v[96:97], v[108:109], v[118:119], v[120:121]
	v_add_f64_e64 v[108:109], v[70:71], -v[148:149]
	v_fma_f64 v[148:149], v[156:157], 2.0, -v[186:187]
	v_add_f64_e64 v[118:119], v[72:73], -v[135:136]
	v_fma_f64 v[16:17], v[144:145], 2.0, -v[150:151]
	v_fma_f64 v[144:145], v[114:115], 2.0, -v[160:161]
	v_add_f64_e64 v[120:121], v[112:113], -v[8:9]
	v_add_f64_e64 v[8:9], v[178:179], -v[158:159]
	v_fma_f64 v[158:159], v[80:81], 2.0, -v[194:195]
	v_add_f64_e64 v[156:157], v[92:93], -v[162:163]
	v_add_f64_e64 v[2:3], v[146:147], -v[12:13]
	v_fma_f64 v[133:134], v[180:181], 2.0, -v[152:153]
	v_fma_f64 v[135:136], v[142:143], 2.0, -v[168:169]
	v_add_f64_e64 v[142:143], v[184:185], -v[100:101]
	v_add_f64_e64 v[12:13], v[154:155], -v[110:111]
	v_fma_f64 v[162:163], v[164:165], 2.0, -v[192:193]
	v_add_f64_e64 v[100:101], v[28:29], -v[68:69]
	v_fma_f64 v[166:167], v[168:169], s[2:3], v[152:153]
	v_add_f64_e64 v[102:103], v[56:57], -v[102:103]
	v_fma_f64 v[150:151], v[150:151], 2.0, -v[116:117]
	v_fma_f64 v[190:191], v[194:195], s[2:3], v[192:193]
	v_add_f64_e64 v[80:81], v[174:175], -v[140:141]
	v_add_f64_e64 v[86:87], v[104:105], -v[86:87]
	;; [unrolled: 1-line block ×4, first 2 shown]
	v_mul_f64_e32 v[110:111], v[26:27], v[84:85]
	v_mul_f64_e32 v[84:85], v[54:55], v[84:85]
	;; [unrolled: 1-line block ×4, first 2 shown]
	v_fma_f64 v[164:165], v[70:71], 2.0, -v[108:109]
	v_fma_f64 v[170:171], v[72:73], 2.0, -v[118:119]
	v_fma_f64 v[72:73], v[186:187], s[2:3], v[160:161]
	v_add_f64_e64 v[98:99], v[16:17], -v[98:99]
	v_fma_f64 v[176:177], v[112:113], 2.0, -v[120:121]
	v_fma_f64 v[178:179], v[178:179], 2.0, -v[8:9]
	;; [unrolled: 1-line block ×4, first 2 shown]
	s_wait_alu 0xfffe
	v_fma_f64 v[146:147], v[135:136], s[6:7], v[133:134]
	v_fma_f64 v[180:181], v[184:185], 2.0, -v[142:143]
	v_fma_f64 v[154:155], v[154:155], 2.0, -v[12:13]
	v_fma_f64 v[184:185], v[148:149], s[6:7], v[144:145]
	v_fma_f64 v[188:189], v[158:159], s[6:7], v[162:163]
	v_fma_f64 v[190:191], v[116:117], s[2:3], v[190:191]
	v_fma_f64 v[68:69], v[104:105], 2.0, -v[86:87]
	v_add_f64_e32 v[196:197], v[80:81], v[88:89]
	v_add_f64_e64 v[198:199], v[86:87], -v[96:97]
	v_fma_f64 v[124:125], v[54:55], v[82:83], v[110:111]
	v_fma_f64 v[70:71], v[26:27], v[82:83], -v[84:85]
	v_fma_f64 v[26:27], v[138:139], v[122:123], v[114:115]
	v_fma_f64 v[32:33], v[32:33], v[122:123], -v[140:141]
	v_fma_f64 v[122:123], v[174:175], 2.0, -v[80:81]
	v_fma_f64 v[84:85], v[106:107], 2.0, -v[96:97]
	;; [unrolled: 1-line block ×3, first 2 shown]
	v_add_f64_e32 v[137:138], v[120:121], v[100:101]
	v_fma_f64 v[139:140], v[108:109], s[2:3], v[166:167]
	v_add_f64_e32 v[166:167], v[142:143], v[102:103]
	v_fma_f64 v[174:175], v[118:119], s[2:3], v[72:73]
	v_add_f64_e32 v[200:201], v[156:157], v[98:99]
	v_mul_f64_e32 v[54:55], s[2:3], v[168:169]
	v_mul_f64_e32 v[114:115], s[2:3], v[108:109]
	;; [unrolled: 1-line block ×7, first 2 shown]
	v_add_f64_e64 v[178:179], v[92:93], -v[178:179]
	v_add_f64_e64 v[182:183], v[176:177], -v[112:113]
	v_mul_f64_e32 v[112:113], s[2:3], v[118:119]
	v_fma_f64 v[146:147], v[164:165], s[2:3], v[146:147]
	v_mul_f64_e32 v[118:119], s[2:3], v[170:171]
	v_add_f64_e64 v[154:155], v[180:181], -v[154:155]
	v_fma_f64 v[184:185], v[170:171], s[2:3], v[184:185]
	v_fma_f64 v[188:189], v[150:151], s[2:3], v[188:189]
	v_fma_f64 v[168:169], v[192:193], 2.0, -v[190:191]
	v_fma_f64 v[96:97], v[80:81], 2.0, -v[196:197]
	;; [unrolled: 1-line block ×3, first 2 shown]
	v_mul_f64_e32 v[80:81], s[2:3], v[196:197]
	v_add_f64_e64 v[82:83], v[124:125], -v[26:27]
	v_add_f64_e64 v[86:87], v[70:71], -v[32:33]
	v_mul_f64_e32 v[32:33], s[2:3], v[186:187]
	v_mul_f64_e32 v[26:27], s[2:3], v[194:195]
	v_add_f64_e64 v[72:73], v[122:123], -v[84:85]
	v_add_f64_e64 v[88:89], v[68:69], -v[88:89]
	v_mul_f64_e32 v[84:85], s[2:3], v[198:199]
	v_fma_f64 v[135:136], v[120:121], 2.0, -v[137:138]
	v_mul_f64_e32 v[120:121], s[2:3], v[150:151]
	v_fma_f64 v[148:149], v[152:153], 2.0, -v[139:140]
	v_fma_f64 v[141:142], v[142:143], 2.0, -v[166:167]
	;; [unrolled: 1-line block ×10, first 2 shown]
	s_wait_alu 0xf1ff
	v_cndmask_b32_e64 v145, 0, 0x50, s1
	s_delay_alu instid0(VALU_DEP_1) | instskip(SKIP_3) | instid1(VALU_DEP_4)
	v_or_b32_e32 v126, v145, v126
	v_mul_f64_e32 v[92:93], s[2:3], v[96:97]
	v_mul_f64_e32 v[96:97], s[2:3], v[213:214]
	v_and_b32_e32 v145, 0xff, v128
	v_lshlrev_b32_e32 v131, 3, v126
	v_and_b32_e32 v126, 0xffff, v132
	s_delay_alu instid0(VALU_DEP_3) | instskip(NEXT) | instid1(VALU_DEP_3)
	v_lshlrev_b32_e32 v130, 3, v145
	v_add3_u32 v128, 0, v131, v211
	s_delay_alu instid0(VALU_DEP_2)
	v_add3_u32 v130, 0, v130, v211
	ds_store_2addr_b64 v128, v[137:138], v[139:140] offset0:60 offset1:70
	ds_store_2addr_b64 v128, v[135:136], v[148:149] offset0:20 offset1:30
	;; [unrolled: 1-line block ×3, first 2 shown]
	ds_store_2addr_b64 v128, v[158:159], v[133:134] offset1:10
	ds_store_2addr_b64 v130, v[141:142], v[152:153] offset0:20 offset1:30
	ds_store_2addr_b64 v130, v[154:155], v[184:185] offset0:40 offset1:50
	;; [unrolled: 1-line block ×3, first 2 shown]
	ds_store_2addr_b64 v130, v[160:161], v[143:144] offset1:10
	ds_store_2addr_b64 v129, v[164:165], v[162:163] offset1:10
	ds_store_2addr_b64 v129, v[156:157], v[168:169] offset0:20 offset1:30
	ds_store_2addr_b64 v129, v[178:179], v[188:189] offset0:40 offset1:50
	;; [unrolled: 1-line block ×3, first 2 shown]
	s_and_saveexec_b32 s1, s0
	s_cbranch_execz .LBB0_19
; %bb.18:
	v_mul_f64_e32 v[131:132], v[14:15], v[76:77]
	v_fma_f64 v[124:125], v[124:125], 2.0, -v[82:83]
	v_fma_f64 v[122:123], v[122:123], 2.0, -v[72:73]
	v_mul_u32_u24_e32 v141, 0x50, v126
	s_delay_alu instid0(VALU_DEP_1) | instskip(NEXT) | instid1(VALU_DEP_1)
	v_or_b32_e32 v141, v141, v127
	v_lshlrev_b32_e32 v141, 3, v141
	s_delay_alu instid0(VALU_DEP_1) | instskip(SKIP_1) | instid1(VALU_DEP_1)
	v_add3_u32 v141, 0, v141, v211
	v_fma_f64 v[131:132], v[0:1], v[74:75], v[131:132]
	v_add_f64_e64 v[131:132], v[6:7], -v[131:132]
	s_delay_alu instid0(VALU_DEP_1) | instskip(SKIP_1) | instid1(VALU_DEP_2)
	v_add_f64_e32 v[133:134], v[131:132], v[86:87]
	v_fma_f64 v[6:7], v[6:7], 2.0, -v[131:132]
	v_fma_f64 v[131:132], v[131:132], 2.0, -v[133:134]
	s_delay_alu instid0(VALU_DEP_2) | instskip(SKIP_1) | instid1(VALU_DEP_3)
	v_add_f64_e64 v[124:125], v[6:7], -v[124:125]
	v_add_f64_e32 v[135:136], v[133:134], v[80:81]
	v_add_f64_e64 v[137:138], v[131:132], -v[92:93]
	s_delay_alu instid0(VALU_DEP_3) | instskip(NEXT) | instid1(VALU_DEP_3)
	v_fma_f64 v[6:7], v[6:7], 2.0, -v[124:125]
	v_add_f64_e32 v[135:136], v[84:85], v[135:136]
	v_add_f64_e32 v[139:140], v[124:125], v[88:89]
	s_delay_alu instid0(VALU_DEP_4) | instskip(NEXT) | instid1(VALU_DEP_4)
	v_add_f64_e32 v[137:138], v[96:97], v[137:138]
	v_add_f64_e64 v[122:123], v[6:7], -v[122:123]
	s_delay_alu instid0(VALU_DEP_4) | instskip(NEXT) | instid1(VALU_DEP_4)
	v_fma_f64 v[133:134], v[133:134], 2.0, -v[135:136]
	v_fma_f64 v[124:125], v[124:125], 2.0, -v[139:140]
	s_delay_alu instid0(VALU_DEP_4) | instskip(NEXT) | instid1(VALU_DEP_4)
	v_fma_f64 v[131:132], v[131:132], 2.0, -v[137:138]
	v_fma_f64 v[6:7], v[6:7], 2.0, -v[122:123]
	ds_store_2addr_b64 v141, v[124:125], v[133:134] offset0:20 offset1:30
	ds_store_2addr_b64 v141, v[122:123], v[137:138] offset0:40 offset1:50
	ds_store_2addr_b64 v141, v[6:7], v[131:132] offset1:10
	ds_store_2addr_b64 v141, v[139:140], v[135:136] offset0:60 offset1:70
.LBB0_19:
	s_wait_alu 0xfffe
	s_or_b32 exec_lo, exec_lo, s1
	v_mul_f64_e32 v[6:7], v[40:41], v[36:37]
	v_mul_f64_e32 v[36:37], v[42:43], v[48:49]
	;; [unrolled: 1-line block ×3, first 2 shown]
	v_fma_f64 v[30:31], v[30:31], 2.0, -v[62:63]
	v_fma_f64 v[28:29], v[28:29], 2.0, -v[100:101]
	;; [unrolled: 1-line block ×3, first 2 shown]
	global_wb scope:SCOPE_SE
	s_wait_dscnt 0x0
	s_barrier_signal -1
	s_barrier_wait -1
	global_inv scope:SCOPE_SE
	v_fma_f64 v[6:7], v[20:21], v[34:35], -v[6:7]
	v_fma_f64 v[20:21], v[22:23], v[46:47], -v[36:37]
	;; [unrolled: 1-line block ×3, first 2 shown]
	v_fma_f64 v[24:25], v[60:61], 2.0, -v[38:39]
	v_fma_f64 v[38:39], v[78:79], 2.0, -v[66:67]
	;; [unrolled: 1-line block ×3, first 2 shown]
	v_add3_u32 v66, 0, v212, v211
	v_add_f64_e64 v[6:7], v[4:5], -v[6:7]
	v_add_f64_e64 v[20:21], v[94:95], -v[20:21]
	;; [unrolled: 1-line block ×3, first 2 shown]
	s_delay_alu instid0(VALU_DEP_3) | instskip(SKIP_1) | instid1(VALU_DEP_4)
	v_fma_f64 v[4:5], v[4:5], 2.0, -v[6:7]
	v_add_f64_e64 v[18:19], v[6:7], -v[18:19]
	v_fma_f64 v[34:35], v[94:95], 2.0, -v[20:21]
	v_add_f64_e64 v[36:37], v[20:21], -v[58:59]
	;; [unrolled: 2-line block ×3, first 2 shown]
	v_add_f64_e64 v[24:25], v[4:5], -v[24:25]
	v_fma_f64 v[6:7], v[6:7], 2.0, -v[18:19]
	v_add_f64_e64 v[30:31], v[34:35], -v[30:31]
	v_fma_f64 v[20:21], v[20:21], 2.0, -v[36:37]
	v_add_f64_e64 v[38:39], v[40:41], -v[38:39]
	v_fma_f64 v[22:23], v[22:23], 2.0, -v[42:43]
	v_add_f64_e32 v[44:45], v[18:19], v[114:115]
	v_add_f64_e32 v[52:53], v[36:37], v[112:113]
	;; [unrolled: 1-line block ×3, first 2 shown]
	v_fma_f64 v[4:5], v[4:5], 2.0, -v[24:25]
	v_add_f64_e64 v[48:49], v[6:7], -v[116:117]
	v_fma_f64 v[34:35], v[34:35], 2.0, -v[30:31]
	v_add_f64_e64 v[50:51], v[20:21], -v[118:119]
	;; [unrolled: 2-line block ×3, first 2 shown]
	v_add_f64_e64 v[78:79], v[24:25], -v[2:3]
	v_add_f64_e64 v[90:91], v[44:45], -v[54:55]
	;; [unrolled: 1-line block ×12, first 2 shown]
	v_fma_f64 v[116:117], v[24:25], 2.0, -v[78:79]
	v_fma_f64 v[118:119], v[18:19], 2.0, -v[90:91]
	;; [unrolled: 1-line block ×10, first 2 shown]
	v_add_nc_u32_e32 v40, 0x800, v210
	v_fma_f64 v[135:136], v[36:37], 2.0, -v[108:109]
	v_fma_f64 v[141:142], v[22:23], 2.0, -v[104:105]
	ds_load_2addr_b64 v[2:5], v210 offset0:64 offset1:80
	ds_load_2addr_b64 v[6:9], v210 offset0:160 offset1:176
	;; [unrolled: 1-line block ×8, first 2 shown]
	ds_load_2addr_b64 v[20:23], v40 offset1:16
	ds_load_2addr_b64 v[28:31], v40 offset0:160 offset1:176
	ds_load_2addr_b64 v[36:39], v40 offset0:96 offset1:112
	ds_load_b64 v[64:65], v207
	ds_load_b64 v[12:13], v208
	;; [unrolled: 1-line block ×4, first 2 shown]
	ds_load_2addr_b64 v[48:51], v40 offset0:32 offset1:48
	ds_load_2addr_b64 v[40:43], v40 offset0:192 offset1:208
	global_wb scope:SCOPE_SE
	s_wait_dscnt 0x0
	s_barrier_signal -1
	s_barrier_wait -1
	global_inv scope:SCOPE_SE
	ds_store_2addr_b64 v128, v[78:79], v[90:91] offset0:60 offset1:70
	ds_store_2addr_b64 v128, v[116:117], v[118:119] offset0:20 offset1:30
	;; [unrolled: 1-line block ×3, first 2 shown]
	ds_store_2addr_b64 v128, v[122:123], v[124:125] offset1:10
	ds_store_2addr_b64 v130, v[131:132], v[133:134] offset1:10
	ds_store_2addr_b64 v130, v[120:121], v[135:136] offset0:20 offset1:30
	ds_store_2addr_b64 v130, v[102:103], v[106:107] offset0:40 offset1:50
	;; [unrolled: 1-line block ×3, first 2 shown]
	ds_store_2addr_b64 v129, v[139:140], v[141:142] offset1:10
	ds_store_2addr_b64 v129, v[137:138], v[143:144] offset0:20 offset1:30
	ds_store_2addr_b64 v129, v[112:113], v[104:105] offset0:40 offset1:50
	;; [unrolled: 1-line block ×3, first 2 shown]
	s_and_saveexec_b32 s1, s0
	s_cbranch_execz .LBB0_21
; %bb.20:
	v_mul_f64_e32 v[0:1], v[0:1], v[76:77]
	v_fma_f64 v[67:68], v[68:69], 2.0, -v[88:89]
	s_delay_alu instid0(VALU_DEP_2) | instskip(SKIP_1) | instid1(VALU_DEP_2)
	v_fma_f64 v[0:1], v[14:15], v[74:75], -v[0:1]
	v_fma_f64 v[14:15], v[70:71], 2.0, -v[86:87]
	v_add_f64_e64 v[0:1], v[10:11], -v[0:1]
	s_delay_alu instid0(VALU_DEP_1) | instskip(SKIP_1) | instid1(VALU_DEP_2)
	v_fma_f64 v[10:11], v[10:11], 2.0, -v[0:1]
	v_add_f64_e64 v[70:71], v[0:1], -v[82:83]
	v_add_f64_e64 v[14:15], v[10:11], -v[14:15]
	s_delay_alu instid0(VALU_DEP_2) | instskip(SKIP_1) | instid1(VALU_DEP_3)
	v_fma_f64 v[0:1], v[0:1], 2.0, -v[70:71]
	v_add_f64_e32 v[74:75], v[70:71], v[84:85]
	v_fma_f64 v[10:11], v[10:11], 2.0, -v[14:15]
	s_delay_alu instid0(VALU_DEP_3) | instskip(SKIP_1) | instid1(VALU_DEP_4)
	v_add_f64_e64 v[76:77], v[0:1], -v[96:97]
	v_add_f64_e64 v[72:73], v[14:15], -v[72:73]
	;; [unrolled: 1-line block ×3, first 2 shown]
	s_delay_alu instid0(VALU_DEP_4) | instskip(NEXT) | instid1(VALU_DEP_4)
	v_add_f64_e64 v[67:68], v[10:11], -v[67:68]
	v_add_f64_e64 v[76:77], v[76:77], -v[92:93]
	s_delay_alu instid0(VALU_DEP_4) | instskip(NEXT) | instid1(VALU_DEP_4)
	v_fma_f64 v[14:15], v[14:15], 2.0, -v[72:73]
	v_fma_f64 v[69:70], v[70:71], 2.0, -v[74:75]
	v_mul_u32_u24_e32 v71, 0x50, v126
	s_delay_alu instid0(VALU_DEP_1) | instskip(NEXT) | instid1(VALU_DEP_1)
	v_or_b32_e32 v71, v71, v127
	v_lshlrev_b32_e32 v71, 3, v71
	s_delay_alu instid0(VALU_DEP_1)
	v_add3_u32 v71, 0, v71, v211
	v_fma_f64 v[10:11], v[10:11], 2.0, -v[67:68]
	v_fma_f64 v[0:1], v[0:1], 2.0, -v[76:77]
	ds_store_2addr_b64 v71, v[14:15], v[69:70] offset0:20 offset1:30
	ds_store_2addr_b64 v71, v[67:68], v[76:77] offset0:40 offset1:50
	ds_store_2addr_b64 v71, v[10:11], v[0:1] offset1:10
	ds_store_2addr_b64 v71, v[72:73], v[74:75] offset0:60 offset1:70
.LBB0_21:
	s_wait_alu 0xfffe
	s_or_b32 exec_lo, exec_lo, s1
	global_wb scope:SCOPE_SE
	s_wait_dscnt 0x0
	s_barrier_signal -1
	s_barrier_wait -1
	global_inv scope:SCOPE_SE
	s_and_saveexec_b32 s0, vcc_lo
	s_cbranch_execz .LBB0_23
; %bb.22:
	v_or_b32_e32 v0, 64, v206
	v_mul_u32_u24_e32 v1, 5, v206
	v_add_nc_u32_e32 v171, 0x800, v210
	s_mov_b32 s2, 0xe8584caa
	s_mov_b32 s3, 0xbfebb67a
	v_mul_u32_u24_e32 v0, 5, v0
	v_dual_mov_b32 v1, 0 :: v_dual_lshlrev_b32 v10, 4, v1
	s_mov_b32 s1, 0x3febb67a
	s_wait_alu 0xfffe
	s_mov_b32 s0, s2
	v_lshlrev_b32_e32 v14, 4, v0
	v_mul_i32_i24_e32 v0, 5, v205
	s_clause 0x6
	global_load_b128 v[67:70], v10, s[4:5] offset:1152
	global_load_b128 v[71:74], v14, s[4:5] offset:1136
	;; [unrolled: 1-line block ×7, first 2 shown]
	v_lshlrev_b64_e32 v[10:11], 4, v[0:1]
	s_clause 0x2
	global_load_b128 v[95:98], v14, s[4:5] offset:1152
	global_load_b128 v[99:102], v14, s[4:5] offset:1184
	global_load_b128 v[103:106], v14, s[4:5] offset:1120
	v_mul_i32_i24_e32 v0, 5, v204
	v_add_co_u32 v10, vcc_lo, s4, v10
	s_wait_alu 0xfffd
	v_add_co_ci_u32_e32 v11, vcc_lo, s5, v11, vcc_lo
	s_delay_alu instid0(VALU_DEP_3)
	v_lshlrev_b64_e32 v[14:15], 4, v[0:1]
	v_mul_i32_i24_e32 v0, 5, v203
	s_clause 0x4
	global_load_b128 v[107:110], v[10:11], off offset:1136
	global_load_b128 v[111:114], v[10:11], off offset:1168
	;; [unrolled: 1-line block ×5, first 2 shown]
	v_lshlrev_b64_e32 v[0:1], 4, v[0:1]
	v_add_co_u32 v10, vcc_lo, s4, v14
	s_wait_alu 0xfffd
	v_add_co_ci_u32_e32 v11, vcc_lo, s5, v15, vcc_lo
	s_clause 0x1
	global_load_b128 v[127:130], v[10:11], off offset:1136
	global_load_b128 v[131:134], v[10:11], off offset:1168
	v_add_co_u32 v0, vcc_lo, s4, v0
	s_clause 0x2
	global_load_b128 v[135:138], v[10:11], off offset:1120
	global_load_b128 v[139:142], v[10:11], off offset:1152
	;; [unrolled: 1-line block ×3, first 2 shown]
	s_wait_alu 0xfffd
	v_add_co_ci_u32_e32 v1, vcc_lo, s5, v1, vcc_lo
	s_clause 0x4
	global_load_b128 v[147:150], v[0:1], off offset:1136
	global_load_b128 v[151:154], v[0:1], off offset:1168
	;; [unrolled: 1-line block ×5, first 2 shown]
	ds_load_2addr_b64 v[167:170], v210 offset0:224 offset1:240
	ds_load_2addr_b64 v[174:177], v171 offset0:128 offset1:144
	;; [unrolled: 1-line block ×11, first 2 shown]
	ds_load_2addr_b64 v[219:222], v171 offset1:16
	ds_load_2addr_b64 v[223:226], v171 offset0:160 offset1:176
	s_wait_loadcnt_dscnt 0x180c
	v_mul_f64_e32 v[0:1], v[69:70], v[169:170]
	v_mul_f64_e32 v[10:11], v[54:55], v[69:70]
	s_wait_loadcnt 0x17
	v_mul_f64_e32 v[14:15], v[52:53], v[73:74]
	v_mul_f64_e32 v[69:70], v[167:168], v[73:74]
	s_wait_loadcnt_dscnt 0x160b
	v_mul_f64_e32 v[73:74], v[77:78], v[176:177]
	v_mul_f64_e32 v[77:78], v[58:59], v[77:78]
	s_wait_loadcnt 0x15
	v_mul_f64_e32 v[227:228], v[56:57], v[81:82]
	v_mul_f64_e32 v[81:82], v[174:175], v[81:82]
	s_wait_loadcnt 0x14
	v_mul_f64_e32 v[229:230], v[6:7], v[85:86]
	s_wait_dscnt 0xa
	v_mul_f64_e32 v[85:86], v[178:179], v[85:86]
	s_wait_loadcnt_dscnt 0x1109
	v_mul_f64_e32 v[235:236], v[97:98], v[188:189]
	v_mul_f64_e32 v[97:98], v[50:51], v[97:98]
	;; [unrolled: 1-line block ×5, first 2 shown]
	s_wait_dscnt 0x8
	v_mul_f64_e32 v[89:90], v[182:183], v[89:90]
	v_fma_f64 v[0:1], v[54:55], v[67:68], v[0:1]
	v_fma_f64 v[10:11], v[67:68], v[169:170], -v[10:11]
	v_fma_f64 v[14:15], v[71:72], v[167:168], -v[14:15]
	v_fma_f64 v[52:53], v[52:53], v[71:72], v[69:70]
	s_wait_loadcnt 0xd
	v_mul_f64_e32 v[71:72], v[38:39], v[113:114]
	s_wait_dscnt 0x4
	v_mul_f64_e32 v[113:114], v[205:206], v[113:114]
	v_fma_f64 v[58:59], v[58:59], v[75:76], v[73:74]
	v_fma_f64 v[73:74], v[75:76], v[176:177], -v[77:78]
	s_wait_loadcnt 0xb
	v_mul_f64_e32 v[75:76], v[121:122], v[194:195]
	v_mul_f64_e32 v[69:70], v[34:35], v[109:110]
	;; [unrolled: 1-line block ×8, first 2 shown]
	v_fma_f64 v[167:168], v[79:80], v[174:175], -v[227:228]
	v_mul_f64_e32 v[117:118], v[48:49], v[117:118]
	v_fma_f64 v[56:57], v[56:57], v[79:80], v[81:82]
	s_wait_loadcnt 0xa
	v_mul_f64_e32 v[79:80], v[40:41], v[125:126]
	v_mul_f64_e32 v[169:170], v[125:126], v[190:191]
	s_wait_loadcnt 0x8
	v_mul_f64_e32 v[125:126], v[36:37], v[133:134]
	v_fma_f64 v[174:175], v[178:179], v[83:84], -v[229:230]
	v_fma_f64 v[6:7], v[6:7], v[83:84], v[85:86]
	v_mul_f64_e32 v[83:84], v[198:199], v[129:130]
	v_mul_f64_e32 v[85:86], v[203:204], v[133:134]
	s_wait_loadcnt 0x6
	v_mul_f64_e32 v[133:134], v[22:23], v[141:142]
	v_fma_f64 v[50:51], v[50:51], v[95:96], v[235:236]
	v_fma_f64 v[95:96], v[95:96], v[188:189], -v[97:98]
	s_wait_loadcnt 0x5
	v_mul_f64_e32 v[97:98], v[30:31], v[145:146]
	v_mul_f64_e32 v[81:82], v[44:45], v[121:122]
	s_wait_dscnt 0x3
	v_fma_f64 v[4:5], v[213:214], v[91:92], -v[4:5]
	s_wait_dscnt 0x0
	v_mul_f64_e32 v[91:92], v[145:146], v[225:226]
	v_mul_f64_e32 v[121:122], v[32:33], v[129:130]
	v_fma_f64 v[129:130], v[87:88], v[182:183], -v[231:232]
	v_fma_f64 v[24:25], v[24:25], v[87:88], v[89:90]
	v_mul_f64_e32 v[87:88], v[137:138], v[217:218]
	v_mul_f64_e32 v[137:138], v[18:19], v[137:138]
	;; [unrolled: 1-line block ×3, first 2 shown]
	v_fma_f64 v[93:94], v[213:214], v[93:94], v[233:234]
	s_wait_loadcnt 0x2
	v_mul_f64_e32 v[141:142], v[16:17], v[157:158]
	v_fma_f64 v[71:72], v[111:112], v[205:206], -v[71:72]
	v_fma_f64 v[38:39], v[38:39], v[111:112], v[113:114]
	s_wait_loadcnt 0x1
	v_mul_f64_e32 v[113:114], v[20:21], v[161:162]
	s_wait_loadcnt 0x0
	v_mul_f64_e32 v[111:112], v[165:166], v[223:224]
	v_fma_f64 v[44:45], v[44:45], v[119:120], v[75:76]
	v_mul_f64_e32 v[75:76], v[28:29], v[165:166]
	v_fma_f64 v[34:35], v[34:35], v[107:108], v[109:110]
	;; [unrolled: 2-line block ×3, first 2 shown]
	v_fma_f64 v[54:55], v[99:100], v[192:193], -v[67:68]
	v_mul_f64_e32 v[67:68], v[8:9], v[149:150]
	v_fma_f64 v[46:47], v[46:47], v[103:104], v[101:102]
	v_fma_f64 v[101:102], v[103:104], v[196:197], -v[105:106]
	v_mul_f64_e32 v[103:104], v[180:181], v[149:150]
	v_fma_f64 v[48:49], v[48:49], v[115:116], v[77:78]
	v_fma_f64 v[115:116], v[115:116], v[186:187], -v[117:118]
	v_fma_f64 v[79:80], v[123:124], v[190:191], -v[79:80]
	v_mul_f64_e32 v[105:106], v[184:185], v[153:154]
	v_mul_f64_e32 v[99:100], v[26:27], v[153:154]
	v_fma_f64 v[69:70], v[107:108], v[200:201], -v[69:70]
	v_fma_f64 v[32:33], v[32:33], v[127:128], v[83:84]
	v_fma_f64 v[36:37], v[36:37], v[131:132], v[85:86]
	v_fma_f64 v[83:84], v[139:140], v[221:222], -v[133:134]
	v_mul_f64_e32 v[107:108], v[157:158], v[215:216]
	ds_load_b64 v[77:78], v66
	ds_load_b64 v[145:146], v209
	;; [unrolled: 1-line block ×4, first 2 shown]
	v_fma_f64 v[85:86], v[143:144], v[225:226], -v[97:98]
	v_fma_f64 v[40:41], v[40:41], v[123:124], v[169:170]
	v_fma_f64 v[81:82], v[119:120], v[194:195], -v[81:82]
	v_fma_f64 v[30:31], v[30:31], v[143:144], v[91:92]
	v_add_co_u32 v196, vcc_lo, s8, v172
	s_wait_alu 0xfffd
	v_add_co_ci_u32_e32 v197, vcc_lo, s9, v173, vcc_lo
	v_fma_f64 v[18:19], v[18:19], v[135:136], v[87:88]
	v_fma_f64 v[87:88], v[135:136], v[217:218], -v[137:138]
	v_fma_f64 v[22:23], v[22:23], v[139:140], v[89:90]
	v_fma_f64 v[97:98], v[155:156], v[215:216], -v[141:142]
	v_fma_f64 v[117:118], v[127:128], v[198:199], -v[121:122]
	v_add_f64_e32 v[121:122], v[6:7], v[24:25]
	v_add_f64_e64 v[123:124], v[174:175], -v[129:130]
	v_fma_f64 v[91:92], v[159:160], v[219:220], -v[113:114]
	v_fma_f64 v[28:29], v[28:29], v[163:164], v[111:112]
	v_add_f64_e64 v[111:112], v[0:1], -v[58:59]
	v_fma_f64 v[75:76], v[163:164], v[223:224], -v[75:76]
	s_wait_dscnt 0x0
	v_add_f64_e32 v[113:114], v[153:154], v[174:175]
	v_fma_f64 v[20:21], v[20:21], v[159:160], v[109:110]
	v_add_f64_e32 v[109:110], v[10:11], v[73:74]
	v_add_f64_e32 v[135:136], v[95:96], v[54:55]
	v_fma_f64 v[66:67], v[147:148], v[180:181], -v[67:68]
	v_add_f64_e32 v[165:166], v[34:35], v[38:39]
	v_fma_f64 v[119:120], v[131:132], v[203:204], -v[125:126]
	v_fma_f64 v[8:9], v[8:9], v[147:148], v[103:104]
	v_add_f64_e64 v[103:104], v[6:7], -v[24:25]
	v_add_f64_e32 v[6:7], v[64:65], v[6:7]
	v_add_f64_e32 v[147:148], v[115:116], v[79:80]
	v_fma_f64 v[26:27], v[26:27], v[151:152], v[105:106]
	v_add_f64_e32 v[105:106], v[0:1], v[58:59]
	v_add_f64_e32 v[0:1], v[93:94], v[0:1]
	v_fma_f64 v[89:90], v[151:152], v[184:185], -v[99:100]
	v_add_f64_e32 v[99:100], v[174:175], v[129:130]
	v_add_f64_e64 v[151:152], v[34:35], -v[38:39]
	v_fma_f64 v[16:17], v[16:17], v[155:156], v[107:108]
	v_add_f64_e64 v[107:108], v[10:11], -v[73:74]
	v_add_f64_e32 v[163:164], v[83:84], v[85:86]
	v_add_f64_e32 v[10:11], v[4:5], v[10:11]
	;; [unrolled: 1-line block ×3, first 2 shown]
	v_add_f64_e64 v[159:160], v[48:49], -v[40:41]
	v_add_f64_e32 v[34:35], v[62:63], v[34:35]
	v_add_f64_e32 v[48:49], v[44:45], v[48:49]
	;; [unrolled: 1-line block ×3, first 2 shown]
	v_add_f64_e64 v[133:134], v[95:96], -v[54:55]
	v_add_f64_e64 v[137:138], v[50:51], -v[42:43]
	v_add_f64_e32 v[95:96], v[101:102], v[95:96]
	v_add_f64_e64 v[171:172], v[32:33], -v[36:37]
	v_add_f64_e64 v[177:178], v[83:84], -v[85:86]
	v_add_f64_e32 v[83:84], v[87:88], v[83:84]
	v_add_f64_e32 v[183:184], v[32:33], v[36:37]
	;; [unrolled: 1-line block ×7, first 2 shown]
	v_add_f64_e64 v[157:158], v[115:116], -v[79:80]
	v_add_f64_e32 v[115:116], v[81:82], v[115:116]
	v_fma_f64 v[4:5], v[109:110], -0.5, v[4:5]
	v_fma_f64 v[101:102], v[135:136], -0.5, v[101:102]
	v_add_f64_e32 v[175:176], v[22:23], v[30:31]
	v_add_f64_e64 v[179:180], v[22:23], -v[30:31]
	v_add_f64_e32 v[22:23], v[18:19], v[22:23]
	v_add_f64_e64 v[127:128], v[52:53], -v[56:57]
	v_add_f64_e32 v[52:53], v[2:3], v[52:53]
	v_add_f64_e32 v[50:51], v[46:47], v[50:51]
	v_fma_f64 v[81:82], v[147:148], -0.5, v[81:82]
	v_add_f64_e64 v[185:186], v[8:9], -v[26:27]
	v_add_f64_e64 v[189:190], v[91:92], -v[75:76]
	v_add_f64_e32 v[91:92], v[97:98], v[91:92]
	v_add_f64_e32 v[135:136], v[8:9], v[26:27]
	;; [unrolled: 1-line block ×6, first 2 shown]
	v_fma_f64 v[0:1], v[163:164], -0.5, v[87:88]
	v_add_f64_e64 v[191:192], v[20:21], -v[28:29]
	v_add_f64_e32 v[20:21], v[16:17], v[20:21]
	v_add_f64_e32 v[24:25], v[6:7], v[24:25]
	v_fma_f64 v[93:94], v[105:106], -0.5, v[93:94]
	v_add_f64_e32 v[143:144], v[69:70], v[71:72]
	v_add_f64_e32 v[161:162], v[77:78], v[69:70]
	;; [unrolled: 1-line block ×5, first 2 shown]
	v_fma_f64 v[99:100], v[99:100], -0.5, v[153:154]
	v_fma_f64 v[64:65], v[121:122], -0.5, v[64:65]
	;; [unrolled: 1-line block ×3, first 2 shown]
	v_add_f64_e32 v[83:84], v[83:84], v[85:86]
	v_add_f64_e32 v[32:33], v[32:33], v[36:37]
	v_add_f64_e64 v[14:15], v[14:15], -v[167:168]
	v_add_f64_e32 v[181:182], v[145:146], v[117:118]
	v_add_f64_e32 v[105:106], v[113:114], v[129:130]
	v_fma_f64 v[6:7], v[173:174], -0.5, v[97:98]
	v_add_f64_e32 v[10:11], v[10:11], v[73:74]
	v_fma_f64 v[73:74], v[125:126], -0.5, v[211:212]
	v_fma_f64 v[40:41], v[111:112], s[2:3], v[4:5]
	s_wait_alu 0xfffe
	v_fma_f64 v[48:49], v[111:112], s[0:1], v[4:5]
	v_fma_f64 v[36:37], v[137:138], s[2:3], v[101:102]
	;; [unrolled: 1-line block ×3, first 2 shown]
	v_add_f64_e32 v[87:88], v[139:140], v[167:168]
	v_add_f64_e32 v[54:55], v[95:96], v[54:55]
	v_fma_f64 v[95:96], v[141:142], -0.5, v[2:3]
	v_fma_f64 v[44:45], v[155:156], -0.5, v[44:45]
	v_add_f64_e32 v[97:98], v[22:23], v[30:31]
	v_fma_f64 v[22:23], v[159:160], s[2:3], v[81:82]
	v_fma_f64 v[30:31], v[159:160], s[0:1], v[81:82]
	v_add_f64_e32 v[52:53], v[52:53], v[56:57]
	v_add_f64_e32 v[42:43], v[50:51], v[42:43]
	v_fma_f64 v[18:19], v[175:176], -0.5, v[18:19]
	v_add_f64_e32 v[75:76], v[91:92], v[75:76]
	v_add_f64_e32 v[91:92], v[8:9], v[26:27]
	v_fma_f64 v[101:102], v[109:110], -0.5, v[149:150]
	v_fma_f64 v[26:27], v[179:180], s[2:3], v[0:1]
	v_fma_f64 v[16:17], v[187:188], -0.5, v[16:17]
	v_add_f64_e32 v[109:110], v[20:21], v[28:29]
	v_fma_f64 v[28:29], v[179:180], s[0:1], v[0:1]
	v_fma_f64 v[20:21], v[107:108], s[0:1], v[93:94]
	;; [unrolled: 1-line block ×3, first 2 shown]
	v_add_f64_e32 v[193:194], v[149:150], v[66:67]
	v_add_f64_e64 v[68:69], v[69:70], -v[71:72]
	v_fma_f64 v[50:51], v[143:144], -0.5, v[77:78]
	v_add_f64_e32 v[56:57], v[161:162], v[71:72]
	v_add_f64_e32 v[70:71], v[115:116], v[79:80]
	v_fma_f64 v[62:63], v[165:166], -0.5, v[62:63]
	v_add_f64_e64 v[0:1], v[24:25], -v[58:59]
	v_add_f64_e32 v[4:5], v[24:25], v[58:59]
	v_fma_f64 v[77:78], v[169:170], -0.5, v[145:146]
	v_fma_f64 v[111:112], v[103:104], s[2:3], v[99:100]
	v_fma_f64 v[99:100], v[103:104], s[0:1], v[99:100]
	;; [unrolled: 1-line block ×6, first 2 shown]
	v_mul_f64_e32 v[58:59], -0.5, v[40:41]
	v_mul_f64_e32 v[115:116], 0.5, v[48:49]
	v_mul_f64_e32 v[48:49], s[2:3], v[48:49]
	v_fma_f64 v[24:25], v[133:134], s[0:1], v[46:47]
	v_fma_f64 v[46:47], v[133:134], s[2:3], v[46:47]
	v_mul_f64_e32 v[122:123], -0.5, v[36:37]
	v_mul_f64_e32 v[124:125], 0.5, v[85:86]
	v_mul_f64_e32 v[36:37], s[2:3], v[36:37]
	v_mul_f64_e32 v[40:41], s[2:3], v[40:41]
	;; [unrolled: 1-line block ×3, first 2 shown]
	v_add_f64_e64 v[117:118], v[117:118], -v[119:120]
	v_add_f64_e32 v[79:80], v[181:182], v[119:120]
	v_add_f64_e64 v[2:3], v[105:106], -v[10:11]
	v_add_f64_e32 v[6:7], v[105:106], v[10:11]
	v_fma_f64 v[105:106], v[127:128], s[2:3], v[73:74]
	v_fma_f64 v[72:73], v[127:128], s[0:1], v[73:74]
	v_add_f64_e64 v[10:11], v[87:88], -v[54:55]
	v_fma_f64 v[120:121], v[14:15], s[0:1], v[95:96]
	v_fma_f64 v[95:96], v[14:15], s[2:3], v[95:96]
	v_add_f64_e32 v[14:15], v[87:88], v[54:55]
	v_fma_f64 v[54:55], v[157:158], s[0:1], v[44:45]
	v_fma_f64 v[44:45], v[157:158], s[2:3], v[44:45]
	v_mul_f64_e32 v[87:88], -0.5, v[22:23]
	v_mul_f64_e32 v[126:127], 0.5, v[30:31]
	v_mul_f64_e32 v[30:31], s[2:3], v[30:31]
	v_fma_f64 v[60:61], v[183:184], -0.5, v[60:61]
	v_fma_f64 v[81:82], v[135:136], -0.5, v[12:13]
	v_add_f64_e64 v[8:9], v[52:53], -v[42:43]
	v_add_f64_e32 v[12:13], v[52:53], v[42:43]
	v_fma_f64 v[42:43], v[177:178], s[0:1], v[18:19]
	v_mul_f64_e32 v[130:131], -0.5, v[26:27]
	v_mul_f64_e32 v[136:137], s[2:3], v[26:27]
	v_mul_f64_e32 v[52:53], s[2:3], v[22:23]
	v_fma_f64 v[128:129], v[177:178], s[2:3], v[18:19]
	v_mul_f64_e32 v[132:133], 0.5, v[28:29]
	v_mul_f64_e32 v[28:29], s[2:3], v[28:29]
	v_add_f64_e64 v[66:67], v[66:67], -v[89:90]
	v_fma_f64 v[138:139], v[189:190], s[0:1], v[16:17]
	v_mul_f64_e32 v[144:145], -0.5, v[113:114]
	v_mul_f64_e32 v[113:114], s[2:3], v[113:114]
	v_fma_f64 v[140:141], v[189:190], s[2:3], v[16:17]
	v_mul_f64_e32 v[142:143], 0.5, v[107:108]
	v_mul_f64_e32 v[107:108], s[2:3], v[107:108]
	v_add_f64_e32 v[89:90], v[193:194], v[89:90]
	v_fma_f64 v[134:135], v[151:152], s[2:3], v[50:51]
	v_fma_f64 v[146:147], v[151:152], s[0:1], v[50:51]
	;; [unrolled: 1-line block ×6, first 2 shown]
	v_fma_f64 v[68:69], v[93:94], 0.5, v[48:49]
	v_add_f64_e64 v[18:19], v[56:57], -v[70:71]
	v_add_f64_e32 v[22:23], v[56:57], v[70:71]
	v_fma_f64 v[56:57], v[171:172], s[2:3], v[77:78]
	v_fma_f64 v[115:116], v[171:172], s[0:1], v[77:78]
	;; [unrolled: 1-line block ×4, first 2 shown]
	v_fma_f64 v[124:125], v[24:25], -0.5, v[36:37]
	v_fma_f64 v[62:63], v[20:21], -0.5, v[40:41]
	v_fma_f64 v[85:86], v[46:47], 0.5, v[85:86]
	v_fma_f64 v[87:88], v[54:55], s[0:1], v[87:88]
	v_fma_f64 v[93:94], v[44:45], s[0:1], v[126:127]
	v_fma_f64 v[126:127], v[44:45], 0.5, v[30:31]
	v_fma_f64 v[122:123], v[117:118], s[0:1], v[60:61]
	v_fma_f64 v[117:118], v[117:118], s[2:3], v[60:61]
	;; [unrolled: 1-line block ×4, first 2 shown]
	v_add_f64_e64 v[16:17], v[34:35], -v[38:39]
	v_fma_f64 v[130:131], v[42:43], s[0:1], v[130:131]
	v_fma_f64 v[136:137], v[42:43], -0.5, v[136:137]
	v_fma_f64 v[152:153], v[54:55], -0.5, v[52:53]
	v_add_f64_e32 v[30:31], v[79:80], v[83:84]
	v_fma_f64 v[132:133], v[128:129], s[0:1], v[132:133]
	v_fma_f64 v[128:129], v[128:129], 0.5, v[28:29]
	v_fma_f64 v[158:159], v[66:67], s[0:1], v[81:82]
	v_fma_f64 v[160:161], v[66:67], s[2:3], v[81:82]
	;; [unrolled: 1-line block ×3, first 2 shown]
	v_fma_f64 v[138:139], v[138:139], -0.5, v[113:114]
	v_add_f64_e32 v[28:29], v[32:33], v[97:98]
	v_fma_f64 v[142:143], v[140:141], s[0:1], v[142:143]
	v_fma_f64 v[140:141], v[140:141], 0.5, v[107:108]
	v_add_f64_e32 v[20:21], v[34:35], v[38:39]
	v_add_f64_e32 v[38:39], v[89:90], v[75:76]
	;; [unrolled: 1-line block ×3, first 2 shown]
	v_add_f64_e64 v[24:25], v[32:33], -v[97:98]
	v_add_f64_e64 v[34:35], v[89:90], -v[75:76]
	;; [unrolled: 1-line block ×4, first 2 shown]
	v_add_f64_e32 v[54:55], v[99:100], v[58:59]
	v_add_f64_e32 v[52:53], v[64:65], v[68:69]
	v_add_f64_e64 v[44:45], v[64:65], -v[68:69]
	v_add_f64_e64 v[42:43], v[111:112], -v[50:51]
	;; [unrolled: 1-line block ×3, first 2 shown]
	v_add_f64_e32 v[66:67], v[105:106], v[70:71]
	v_add_f64_e64 v[58:59], v[105:106], -v[70:71]
	v_add_f64_e32 v[64:65], v[120:121], v[124:125]
	v_add_f64_e64 v[40:41], v[103:104], -v[62:63]
	;; [unrolled: 2-line block ×3, first 2 shown]
	v_add_f64_e64 v[60:61], v[95:96], -v[85:86]
	v_add_f64_e32 v[68:69], v[95:96], v[85:86]
	v_add_f64_e64 v[74:75], v[134:135], -v[87:88]
	v_add_f64_e32 v[82:83], v[134:135], v[87:88]
	v_add_f64_e32 v[86:87], v[146:147], v[93:94]
	;; [unrolled: 1-line block ×7, first 2 shown]
	v_add_f64_e64 v[78:79], v[146:147], -v[93:94]
	v_add_f64_e64 v[94:95], v[115:116], -v[132:133]
	;; [unrolled: 1-line block ×4, first 2 shown]
	v_add_f64_e32 v[50:51], v[111:112], v[50:51]
	v_add_f64_e32 v[110:111], v[154:155], v[144:145]
	;; [unrolled: 1-line block ×4, first 2 shown]
	v_add_f64_e64 v[106:107], v[156:157], -v[142:143]
	v_add_f64_e64 v[104:105], v[160:161], -v[140:141]
	v_add_f64_e32 v[114:115], v[156:157], v[142:143]
	v_add_f64_e32 v[112:113], v[160:161], v[140:141]
	v_add_f64_e32 v[100:101], v[117:118], v[128:129]
	v_add_f64_e64 v[118:119], v[154:155], -v[144:145]
	v_add_f64_e64 v[116:117], v[158:159], -v[138:139]
	;; [unrolled: 1-line block ×6, first 2 shown]
	v_add_co_u32 v120, vcc_lo, v196, v202
	s_wait_alu 0xfffd
	v_add_co_ci_u32_e32 v121, vcc_lo, 0, v197, vcc_lo
	s_clause 0x1d
	global_store_b128 v[120:121], v[16:19], off offset:4608
	global_store_b128 v[120:121], v[8:11], off offset:4864
	;; [unrolled: 1-line block ×4, first 2 shown]
	global_store_b128 v[120:121], v[4:7], off
	global_store_b128 v[120:121], v[36:39], off offset:256
	global_store_b128 v[120:121], v[32:35], off offset:4096
	global_store_b128 v[120:121], v[24:27], off offset:4352
	global_store_b128 v[120:121], v[52:55], off offset:1280
	global_store_b128 v[120:121], v[12:15], off offset:1024
	global_store_b128 v[120:121], v[0:3], off offset:3840
	global_store_b128 v[120:121], v[64:67], off offset:3584
	global_store_b128 v[120:121], v[40:43], off offset:6400
	global_store_b128 v[120:121], v[60:63], off offset:6144
	global_store_b128 v[120:121], v[84:87], off offset:2048
	global_store_b128 v[120:121], v[68:71], off offset:2304
	global_store_b128 v[120:121], v[96:99], off offset:3072
	global_store_b128 v[120:121], v[80:83], off offset:3328
	global_store_b128 v[120:121], v[92:95], off offset:5632
	global_store_b128 v[120:121], v[76:79], off offset:5888
	global_store_b128 v[120:121], v[48:51], off offset:2560
	global_store_b128 v[120:121], v[108:111], off offset:2816
	global_store_b128 v[120:121], v[44:47], off offset:5120
	global_store_b128 v[120:121], v[104:107], off offset:5376
	global_store_b128 v[120:121], v[112:115], off offset:1536
	global_store_b128 v[120:121], v[100:103], off offset:1792
	global_store_b128 v[120:121], v[116:119], off offset:6656
	global_store_b128 v[120:121], v[88:91], off offset:6912
	global_store_b128 v[120:121], v[72:75], off offset:7168
	global_store_b128 v[120:121], v[56:59], off offset:7424
.LBB0_23:
	s_nop 0
	s_sendmsg sendmsg(MSG_DEALLOC_VGPRS)
	s_endpgm
	.section	.rodata,"a",@progbits
	.p2align	6, 0x0
	.amdhsa_kernel fft_rtc_back_len480_factors_10_8_6_wgs_64_tpt_16_halfLds_dp_ip_CI_unitstride_sbrr_dirReg
		.amdhsa_group_segment_fixed_size 0
		.amdhsa_private_segment_fixed_size 0
		.amdhsa_kernarg_size 88
		.amdhsa_user_sgpr_count 2
		.amdhsa_user_sgpr_dispatch_ptr 0
		.amdhsa_user_sgpr_queue_ptr 0
		.amdhsa_user_sgpr_kernarg_segment_ptr 1
		.amdhsa_user_sgpr_dispatch_id 0
		.amdhsa_user_sgpr_private_segment_size 0
		.amdhsa_wavefront_size32 1
		.amdhsa_uses_dynamic_stack 0
		.amdhsa_enable_private_segment 0
		.amdhsa_system_sgpr_workgroup_id_x 1
		.amdhsa_system_sgpr_workgroup_id_y 0
		.amdhsa_system_sgpr_workgroup_id_z 0
		.amdhsa_system_sgpr_workgroup_info 0
		.amdhsa_system_vgpr_workitem_id 0
		.amdhsa_next_free_vgpr 245
		.amdhsa_next_free_sgpr 32
		.amdhsa_reserve_vcc 1
		.amdhsa_float_round_mode_32 0
		.amdhsa_float_round_mode_16_64 0
		.amdhsa_float_denorm_mode_32 3
		.amdhsa_float_denorm_mode_16_64 3
		.amdhsa_fp16_overflow 0
		.amdhsa_workgroup_processor_mode 1
		.amdhsa_memory_ordered 1
		.amdhsa_forward_progress 0
		.amdhsa_round_robin_scheduling 0
		.amdhsa_exception_fp_ieee_invalid_op 0
		.amdhsa_exception_fp_denorm_src 0
		.amdhsa_exception_fp_ieee_div_zero 0
		.amdhsa_exception_fp_ieee_overflow 0
		.amdhsa_exception_fp_ieee_underflow 0
		.amdhsa_exception_fp_ieee_inexact 0
		.amdhsa_exception_int_div_zero 0
	.end_amdhsa_kernel
	.text
.Lfunc_end0:
	.size	fft_rtc_back_len480_factors_10_8_6_wgs_64_tpt_16_halfLds_dp_ip_CI_unitstride_sbrr_dirReg, .Lfunc_end0-fft_rtc_back_len480_factors_10_8_6_wgs_64_tpt_16_halfLds_dp_ip_CI_unitstride_sbrr_dirReg
                                        ; -- End function
	.section	.AMDGPU.csdata,"",@progbits
; Kernel info:
; codeLenInByte = 12844
; NumSgprs: 34
; NumVgprs: 245
; ScratchSize: 0
; MemoryBound: 1
; FloatMode: 240
; IeeeMode: 1
; LDSByteSize: 0 bytes/workgroup (compile time only)
; SGPRBlocks: 4
; VGPRBlocks: 30
; NumSGPRsForWavesPerEU: 34
; NumVGPRsForWavesPerEU: 245
; Occupancy: 5
; WaveLimiterHint : 1
; COMPUTE_PGM_RSRC2:SCRATCH_EN: 0
; COMPUTE_PGM_RSRC2:USER_SGPR: 2
; COMPUTE_PGM_RSRC2:TRAP_HANDLER: 0
; COMPUTE_PGM_RSRC2:TGID_X_EN: 1
; COMPUTE_PGM_RSRC2:TGID_Y_EN: 0
; COMPUTE_PGM_RSRC2:TGID_Z_EN: 0
; COMPUTE_PGM_RSRC2:TIDIG_COMP_CNT: 0
	.text
	.p2alignl 7, 3214868480
	.fill 96, 4, 3214868480
	.type	__hip_cuid_5ceea22d6f889e59,@object ; @__hip_cuid_5ceea22d6f889e59
	.section	.bss,"aw",@nobits
	.globl	__hip_cuid_5ceea22d6f889e59
__hip_cuid_5ceea22d6f889e59:
	.byte	0                               ; 0x0
	.size	__hip_cuid_5ceea22d6f889e59, 1

	.ident	"AMD clang version 19.0.0git (https://github.com/RadeonOpenCompute/llvm-project roc-6.4.0 25133 c7fe45cf4b819c5991fe208aaa96edf142730f1d)"
	.section	".note.GNU-stack","",@progbits
	.addrsig
	.addrsig_sym __hip_cuid_5ceea22d6f889e59
	.amdgpu_metadata
---
amdhsa.kernels:
  - .args:
      - .actual_access:  read_only
        .address_space:  global
        .offset:         0
        .size:           8
        .value_kind:     global_buffer
      - .offset:         8
        .size:           8
        .value_kind:     by_value
      - .actual_access:  read_only
        .address_space:  global
        .offset:         16
        .size:           8
        .value_kind:     global_buffer
      - .actual_access:  read_only
        .address_space:  global
        .offset:         24
        .size:           8
        .value_kind:     global_buffer
      - .offset:         32
        .size:           8
        .value_kind:     by_value
      - .actual_access:  read_only
        .address_space:  global
        .offset:         40
        .size:           8
        .value_kind:     global_buffer
      - .actual_access:  read_only
        .address_space:  global
        .offset:         48
        .size:           8
        .value_kind:     global_buffer
      - .offset:         56
        .size:           4
        .value_kind:     by_value
      - .actual_access:  read_only
        .address_space:  global
        .offset:         64
        .size:           8
        .value_kind:     global_buffer
      - .actual_access:  read_only
        .address_space:  global
        .offset:         72
        .size:           8
        .value_kind:     global_buffer
      - .address_space:  global
        .offset:         80
        .size:           8
        .value_kind:     global_buffer
    .group_segment_fixed_size: 0
    .kernarg_segment_align: 8
    .kernarg_segment_size: 88
    .language:       OpenCL C
    .language_version:
      - 2
      - 0
    .max_flat_workgroup_size: 64
    .name:           fft_rtc_back_len480_factors_10_8_6_wgs_64_tpt_16_halfLds_dp_ip_CI_unitstride_sbrr_dirReg
    .private_segment_fixed_size: 0
    .sgpr_count:     34
    .sgpr_spill_count: 0
    .symbol:         fft_rtc_back_len480_factors_10_8_6_wgs_64_tpt_16_halfLds_dp_ip_CI_unitstride_sbrr_dirReg.kd
    .uniform_work_group_size: 1
    .uses_dynamic_stack: false
    .vgpr_count:     245
    .vgpr_spill_count: 0
    .wavefront_size: 32
    .workgroup_processor_mode: 1
amdhsa.target:   amdgcn-amd-amdhsa--gfx1201
amdhsa.version:
  - 1
  - 2
...

	.end_amdgpu_metadata
